;; amdgpu-corpus repo=ROCm/aiter kind=compiled arch=gfx90a opt=O3
	.text
	.amdgcn_target "amdgcn-amd-amdhsa--gfx90a"
	.amdhsa_code_object_version 6
	.section	.text._ZN7ck_tileL11flush_cacheEv,"axG",@progbits,_ZN7ck_tileL11flush_cacheEv,comdat
	.globl	_ZN7ck_tileL11flush_cacheEv     ; -- Begin function _ZN7ck_tileL11flush_cacheEv
	.p2align	8
	.type	_ZN7ck_tileL11flush_cacheEv,@function
_ZN7ck_tileL11flush_cacheEv:            ; @_ZN7ck_tileL11flush_cacheEv
; %bb.0:
	;;#ASMSTART
	s_icache_inv 
	s_nop 0 
	s_nop 0 
	;; [unrolled: 1-line block ×16, first 2 shown]
	
	;;#ASMEND
	s_endpgm
	.section	.rodata,"a",@progbits
	.p2align	6, 0x0
	.amdhsa_kernel _ZN7ck_tileL11flush_cacheEv
		.amdhsa_group_segment_fixed_size 0
		.amdhsa_private_segment_fixed_size 0
		.amdhsa_kernarg_size 0
		.amdhsa_user_sgpr_count 4
		.amdhsa_user_sgpr_private_segment_buffer 1
		.amdhsa_user_sgpr_dispatch_ptr 0
		.amdhsa_user_sgpr_queue_ptr 0
		.amdhsa_user_sgpr_kernarg_segment_ptr 0
		.amdhsa_user_sgpr_dispatch_id 0
		.amdhsa_user_sgpr_flat_scratch_init 0
		.amdhsa_user_sgpr_kernarg_preload_length 0
		.amdhsa_user_sgpr_kernarg_preload_offset 0
		.amdhsa_user_sgpr_private_segment_size 0
		.amdhsa_uses_dynamic_stack 0
		.amdhsa_system_sgpr_private_segment_wavefront_offset 0
		.amdhsa_system_sgpr_workgroup_id_x 1
		.amdhsa_system_sgpr_workgroup_id_y 0
		.amdhsa_system_sgpr_workgroup_id_z 0
		.amdhsa_system_sgpr_workgroup_info 0
		.amdhsa_system_vgpr_workitem_id 0
		.amdhsa_next_free_vgpr 1
		.amdhsa_next_free_sgpr 0
		.amdhsa_accum_offset 4
		.amdhsa_reserve_vcc 0
		.amdhsa_reserve_flat_scratch 0
		.amdhsa_float_round_mode_32 0
		.amdhsa_float_round_mode_16_64 0
		.amdhsa_float_denorm_mode_32 3
		.amdhsa_float_denorm_mode_16_64 3
		.amdhsa_dx10_clamp 1
		.amdhsa_ieee_mode 1
		.amdhsa_fp16_overflow 0
		.amdhsa_tg_split 0
		.amdhsa_exception_fp_ieee_invalid_op 0
		.amdhsa_exception_fp_denorm_src 0
		.amdhsa_exception_fp_ieee_div_zero 0
		.amdhsa_exception_fp_ieee_overflow 0
		.amdhsa_exception_fp_ieee_underflow 0
		.amdhsa_exception_fp_ieee_inexact 0
		.amdhsa_exception_int_div_zero 0
	.end_amdhsa_kernel
	.section	.text._ZN7ck_tileL11flush_cacheEv,"axG",@progbits,_ZN7ck_tileL11flush_cacheEv,comdat
.Lfunc_end0:
	.size	_ZN7ck_tileL11flush_cacheEv, .Lfunc_end0-_ZN7ck_tileL11flush_cacheEv
                                        ; -- End function
	.section	.AMDGPU.csdata,"",@progbits
; Kernel info:
; codeLenInByte = 140
; NumSgprs: 4
; NumVgprs: 0
; NumAgprs: 0
; TotalNumVgprs: 0
; ScratchSize: 0
; MemoryBound: 0
; FloatMode: 240
; IeeeMode: 1
; LDSByteSize: 0 bytes/workgroup (compile time only)
; SGPRBlocks: 0
; VGPRBlocks: 0
; NumSGPRsForWavesPerEU: 4
; NumVGPRsForWavesPerEU: 1
; AccumOffset: 4
; Occupancy: 8
; WaveLimiterHint : 0
; COMPUTE_PGM_RSRC2:SCRATCH_EN: 0
; COMPUTE_PGM_RSRC2:USER_SGPR: 4
; COMPUTE_PGM_RSRC2:TRAP_HANDLER: 0
; COMPUTE_PGM_RSRC2:TGID_X_EN: 1
; COMPUTE_PGM_RSRC2:TGID_Y_EN: 0
; COMPUTE_PGM_RSRC2:TGID_Z_EN: 0
; COMPUTE_PGM_RSRC2:TIDIG_COMP_CNT: 0
; COMPUTE_PGM_RSRC3_GFX90A:ACCUM_OFFSET: 0
; COMPUTE_PGM_RSRC3_GFX90A:TG_SPLIT: 0
	.section	.text._ZN5aiter26unary_operator_tile_kernelIfLi8ELi8ENS_9SigmoidOpEEEvPKvPviii,"axG",@progbits,_ZN5aiter26unary_operator_tile_kernelIfLi8ELi8ENS_9SigmoidOpEEEvPKvPviii,comdat
	.protected	_ZN5aiter26unary_operator_tile_kernelIfLi8ELi8ENS_9SigmoidOpEEEvPKvPviii ; -- Begin function _ZN5aiter26unary_operator_tile_kernelIfLi8ELi8ENS_9SigmoidOpEEEvPKvPviii
	.globl	_ZN5aiter26unary_operator_tile_kernelIfLi8ELi8ENS_9SigmoidOpEEEvPKvPviii
	.p2align	8
	.type	_ZN5aiter26unary_operator_tile_kernelIfLi8ELi8ENS_9SigmoidOpEEEvPKvPviii,@function
_ZN5aiter26unary_operator_tile_kernelIfLi8ELi8ENS_9SigmoidOpEEEvPKvPviii: ; @_ZN5aiter26unary_operator_tile_kernelIfLi8ELi8ENS_9SigmoidOpEEEvPKvPviii
; %bb.0:
	s_load_dword s7, s[4:5], 0x2c
	s_load_dwordx4 s[0:3], s[4:5], 0x10
	v_mov_b32_e32 v2, 0
	v_mov_b32_e32 v1, v2
	;; [unrolled: 1-line block ×3, first 2 shown]
	s_waitcnt lgkmcnt(0)
	s_and_b32 s3, s7, 0xffff
	v_mad_u64_u32 v[0:1], s[6:7], s3, v3, v[0:1]
	s_ashr_i32 s11, s1, 31
	s_ashr_i32 s10, s2, 31
	s_lshr_b32 s3, s11, 29
	s_lshr_b32 s6, s10, 29
	s_add_i32 s3, s1, s3
	s_add_i32 s6, s2, s6
	s_ashr_i32 s3, s3, 3
	s_ashr_i32 s12, s6, 3
	;; [unrolled: 1-line block ×3, first 2 shown]
	s_mul_i32 s6, s3, s6
	s_mul_hi_u32 s7, s3, s0
	s_add_i32 s6, s7, s6
	s_mul_i32 s0, s3, s0
	s_mul_hi_u32 s7, s0, s12
	s_mul_i32 s6, s6, s12
	s_add_i32 s7, s7, s6
	s_mul_i32 s6, s0, s12
	v_cmp_gt_u64_e32 vcc, s[6:7], v[0:1]
	s_and_saveexec_b64 s[6:7], vcc
	s_cbranch_execz .LBB1_7
; %bb.1:
	s_load_dwordx4 s[4:7], s[4:5], 0x0
	v_mov_b32_e32 v3, v1
	s_mul_i32 s0, s12, s3
	v_cmp_ne_u64_e32 vcc, 0, v[2:3]
                                        ; implicit-def: $vgpr4_vgpr5
	s_and_saveexec_b64 s[8:9], vcc
	s_xor_b64 s[8:9], exec, s[8:9]
	s_cbranch_execz .LBB1_3
; %bb.2:
	v_cvt_f32_u32_e32 v2, s0
	v_mov_b32_e32 v3, 0x4f800000
	s_sub_u32 s13, 0, s0
	s_subb_u32 s14, 0, 0
	v_mac_f32_e32 v2, 0, v3
	v_rcp_f32_e32 v2, v2
	v_mul_f32_e32 v2, 0x5f7ffffc, v2
	v_mul_f32_e32 v3, 0x2f800000, v2
	v_trunc_f32_e32 v3, v3
	v_madmk_f32 v2, v3, 0xcf800000, v2
	v_cvt_u32_f32_e32 v3, v3
	v_cvt_u32_f32_e32 v2, v2
	v_mul_lo_u32 v4, s13, v3
	v_mul_hi_u32 v6, s13, v2
	v_mul_lo_u32 v5, s14, v2
	v_add_u32_e32 v4, v6, v4
	v_mul_lo_u32 v7, s13, v2
	v_add_u32_e32 v4, v4, v5
	v_mul_hi_u32 v6, v2, v7
	v_mul_lo_u32 v8, v2, v4
	v_mul_hi_u32 v5, v2, v4
	v_add_co_u32_e32 v6, vcc, v6, v8
	v_addc_co_u32_e32 v5, vcc, 0, v5, vcc
	v_mul_hi_u32 v9, v3, v7
	v_mul_lo_u32 v7, v3, v7
	v_add_co_u32_e32 v6, vcc, v6, v7
	v_mul_hi_u32 v8, v3, v4
	v_addc_co_u32_e32 v5, vcc, v5, v9, vcc
	v_addc_co_u32_e32 v6, vcc, 0, v8, vcc
	v_mul_lo_u32 v4, v3, v4
	v_add_co_u32_e32 v4, vcc, v5, v4
	v_addc_co_u32_e32 v5, vcc, 0, v6, vcc
	v_add_co_u32_e32 v2, vcc, v2, v4
	v_addc_co_u32_e32 v3, vcc, v3, v5, vcc
	v_mul_lo_u32 v4, s13, v3
	v_mul_hi_u32 v5, s13, v2
	v_add_u32_e32 v4, v5, v4
	v_mul_lo_u32 v5, s14, v2
	v_add_u32_e32 v4, v4, v5
	v_mul_lo_u32 v6, s13, v2
	v_mul_hi_u32 v7, v3, v6
	v_mul_lo_u32 v8, v3, v6
	v_mul_lo_u32 v10, v2, v4
	v_mul_hi_u32 v6, v2, v6
	v_mul_hi_u32 v9, v2, v4
	v_add_co_u32_e32 v6, vcc, v6, v10
	v_addc_co_u32_e32 v9, vcc, 0, v9, vcc
	v_add_co_u32_e32 v6, vcc, v6, v8
	v_mul_hi_u32 v5, v3, v4
	v_addc_co_u32_e32 v6, vcc, v9, v7, vcc
	v_addc_co_u32_e32 v5, vcc, 0, v5, vcc
	v_mul_lo_u32 v4, v3, v4
	v_add_co_u32_e32 v4, vcc, v6, v4
	v_addc_co_u32_e32 v5, vcc, 0, v5, vcc
	v_add_co_u32_e32 v4, vcc, v2, v4
	v_addc_co_u32_e32 v5, vcc, v3, v5, vcc
	v_mad_u64_u32 v[2:3], s[14:15], v0, v5, 0
	v_mul_hi_u32 v6, v0, v4
	v_add_co_u32_e32 v6, vcc, v6, v2
	v_addc_co_u32_e32 v7, vcc, 0, v3, vcc
	v_mad_u64_u32 v[2:3], s[14:15], v1, v5, 0
	v_mad_u64_u32 v[4:5], s[14:15], v1, v4, 0
	v_add_co_u32_e32 v4, vcc, v6, v4
	v_addc_co_u32_e32 v4, vcc, v7, v5, vcc
	v_addc_co_u32_e32 v3, vcc, 0, v3, vcc
	v_add_co_u32_e32 v6, vcc, v4, v2
	v_addc_co_u32_e32 v5, vcc, 0, v3, vcc
	v_mad_u64_u32 v[2:3], s[14:15], s0, v6, 0
	v_mov_b32_e32 v4, v3
	v_mad_u64_u32 v[4:5], s[14:15], s0, v5, v[4:5]
	v_sub_co_u32_e32 v2, vcc, v0, v2
	v_subb_co_u32_e32 v1, vcc, v1, v4, vcc
	v_subrev_co_u32_e32 v3, vcc, s0, v2
	v_subbrev_co_u32_e32 v4, vcc, 0, v1, vcc
	v_cmp_le_u32_e32 vcc, s0, v3
	v_cndmask_b32_e64 v3, 0, -1, vcc
	v_cmp_eq_u32_e32 vcc, 0, v4
	v_cndmask_b32_e32 v3, -1, v3, vcc
	v_add_co_u32_e32 v4, vcc, 2, v6
	v_add_co_u32_e32 v5, vcc, 1, v6
	v_cmp_le_u32_e32 vcc, s0, v2
	v_cndmask_b32_e64 v2, 0, -1, vcc
	v_cmp_eq_u32_e32 vcc, 0, v1
	v_cndmask_b32_e32 v1, -1, v2, vcc
	v_cmp_ne_u32_e32 vcc, 0, v3
	v_cndmask_b32_e32 v2, v5, v4, vcc
	v_cmp_ne_u32_e32 vcc, 0, v1
	v_cndmask_b32_e32 v4, v6, v2, vcc
.LBB1_3:
	s_andn2_saveexec_b64 s[8:9], s[8:9]
	s_cbranch_execz .LBB1_5
; %bb.4:
	v_cvt_f32_u32_e32 v1, s0
	s_sub_i32 s13, 0, s0
	v_rcp_iflag_f32_e32 v1, v1
	v_mul_f32_e32 v1, 0x4f7ffffe, v1
	v_cvt_u32_f32_e32 v1, v1
	v_mul_lo_u32 v2, s13, v1
	v_mul_hi_u32 v2, v1, v2
	v_add_u32_e32 v1, v1, v2
	v_mul_hi_u32 v1, v0, v1
	v_mul_lo_u32 v2, v1, s0
	v_sub_u32_e32 v2, v0, v2
	v_add_u32_e32 v3, 1, v1
	v_subrev_u32_e32 v4, s0, v2
	v_cmp_le_u32_e32 vcc, s0, v2
	v_cndmask_b32_e32 v2, v2, v4, vcc
	v_cndmask_b32_e32 v1, v1, v3, vcc
	v_add_u32_e32 v3, 1, v1
	v_cmp_le_u32_e32 vcc, s0, v2
	v_cndmask_b32_e32 v4, v1, v3, vcc
.LBB1_5:
	s_or_b64 exec, exec, s[8:9]
	v_cvt_f32_u32_e32 v1, s12
	v_cvt_f32_u32_e32 v3, s3
	v_mul_lo_u32 v2, v4, s0
	s_sub_i32 s0, 0, s12
	v_rcp_iflag_f32_e32 v1, v1
	v_sub_u32_e32 v0, v0, v2
	v_rcp_iflag_f32_e32 v2, v3
	v_mul_f32_e32 v1, 0x4f7ffffe, v1
	v_cvt_u32_f32_e32 v1, v1
	v_mul_f32_e32 v2, 0x4f7ffffe, v2
	v_cvt_u32_f32_e32 v2, v2
	v_mul_lo_u32 v3, s0, v1
	v_mul_hi_u32 v3, v1, v3
	v_add_u32_e32 v1, v1, v3
	v_mul_hi_u32 v1, v0, v1
	v_mul_lo_u32 v3, v1, s12
	v_sub_u32_e32 v3, v0, v3
	v_add_u32_e32 v5, 1, v1
	v_cmp_le_u32_e32 vcc, s12, v3
	v_cndmask_b32_e32 v1, v1, v5, vcc
	v_subrev_u32_e32 v5, s12, v3
	v_cndmask_b32_e32 v3, v3, v5, vcc
	s_sub_i32 s0, 0, s3
	v_cmp_le_u32_e32 vcc, s12, v3
	v_mul_lo_u32 v3, s0, v2
	v_add_u32_e32 v5, 1, v1
	v_mul_hi_u32 v3, v2, v3
	v_cndmask_b32_e32 v1, v1, v5, vcc
	v_add_u32_e32 v2, v2, v3
	v_mul_hi_u32 v2, v1, v2
	v_mul_lo_u32 v2, v2, s3
	v_sub_u32_e32 v2, v1, v2
	v_subrev_u32_e32 v3, s3, v2
	v_cmp_le_u32_e32 vcc, s3, v2
	v_cndmask_b32_e32 v2, v2, v3, vcc
	v_subrev_u32_e32 v3, s3, v2
	v_cmp_le_u32_e32 vcc, s3, v2
	v_cndmask_b32_e32 v5, v2, v3, vcc
	v_mad_u64_u32 v[2:3], s[0:1], v4, s1, 0
	v_mul_lo_u32 v1, v1, s12
	v_mov_b32_e32 v6, v3
	v_sub_u32_e32 v0, v0, v1
	v_mad_u64_u32 v[6:7], s[0:1], v4, s11, v[6:7]
	v_lshlrev_b32_e32 v0, 3, v0
	v_mov_b32_e32 v1, 0
	v_mov_b32_e32 v3, v6
	s_lshl_b32 s0, s3, 1
	s_mov_b32 s1, 8
	s_waitcnt lgkmcnt(0)
	v_mov_b32_e32 v4, s5
	v_mov_b32_e32 v6, s7
.LBB1_6:                                ; =>This Inner Loop Header: Depth=1
	v_add_co_u32_e32 v7, vcc, v2, v5
	v_addc_co_u32_e32 v8, vcc, 0, v3, vcc
	v_add_u32_e32 v10, s3, v5
	v_mul_lo_u32 v11, v7, s10
	v_mul_lo_u32 v12, v8, s2
	v_mad_u64_u32 v[8:9], s[8:9], v7, s2, v[0:1]
	v_add_co_u32_e32 v7, vcc, v2, v10
	v_addc_co_u32_e32 v10, vcc, 0, v3, vcc
	v_add3_u32 v9, v12, v9, v11
	v_mul_lo_u32 v12, v7, s10
	v_mul_lo_u32 v13, v10, s2
	v_mad_u64_u32 v[10:11], s[8:9], v7, s2, v[0:1]
	v_lshlrev_b64 v[24:25], 2, v[8:9]
	v_add3_u32 v11, v13, v11, v12
	v_add_co_u32_e32 v16, vcc, s4, v24
	v_addc_co_u32_e32 v17, vcc, v4, v25, vcc
	v_lshlrev_b64 v[26:27], 2, v[10:11]
	global_load_dwordx4 v[8:11], v[16:17], off
	global_load_dwordx4 v[12:15], v[16:17], off offset:16
	v_add_co_u32_e32 v28, vcc, s4, v26
	v_addc_co_u32_e32 v29, vcc, v4, v27, vcc
	global_load_dwordx4 v[16:19], v[28:29], off
	global_load_dwordx4 v[20:23], v[28:29], off offset:16
	v_add_co_u32_e32 v24, vcc, s6, v24
	s_add_i32 s1, s1, -2
	v_addc_co_u32_e32 v25, vcc, v6, v25, vcc
	v_add_u32_e32 v5, s0, v5
	s_cmp_lg_u32 s1, 0
	v_add_co_u32_e32 v26, vcc, s6, v26
	v_addc_co_u32_e32 v27, vcc, v6, v27, vcc
	s_waitcnt vmcnt(3)
	v_mul_f32_e32 v7, 0xbfb8aa3b, v8
	v_mul_f32_e32 v8, 0xbfb8aa3b, v9
	v_mul_f32_e32 v9, 0xbfb8aa3b, v10
	v_mul_f32_e32 v10, 0xbfb8aa3b, v11
	s_waitcnt vmcnt(2)
	v_mul_f32_e32 v11, 0xbfb8aa3b, v12
	v_mul_f32_e32 v12, 0xbfb8aa3b, v13
	;; [unrolled: 1-line block ×4, first 2 shown]
	v_exp_f32_e32 v7, v7
	v_exp_f32_e32 v8, v8
	;; [unrolled: 1-line block ×8, first 2 shown]
	s_waitcnt vmcnt(1)
	v_mul_f32_e32 v15, 0xbfb8aa3b, v16
	v_mul_f32_e32 v16, 0xbfb8aa3b, v17
	;; [unrolled: 1-line block ×4, first 2 shown]
	s_waitcnt vmcnt(0)
	v_mul_f32_e32 v19, 0xbfb8aa3b, v20
	v_mul_f32_e32 v20, 0xbfb8aa3b, v21
	;; [unrolled: 1-line block ×4, first 2 shown]
	v_exp_f32_e32 v23, v15
	v_exp_f32_e32 v16, v16
	;; [unrolled: 1-line block ×8, first 2 shown]
	v_add_f32_e32 v7, 1.0, v7
	v_add_f32_e32 v15, 1.0, v8
	;; [unrolled: 1-line block ×8, first 2 shown]
	v_rcp_f32_e32 v8, v7
	v_rcp_f32_e32 v9, v15
	v_rcp_f32_e32 v10, v28
	v_rcp_f32_e32 v11, v29
	v_rcp_f32_e32 v12, v30
	v_rcp_f32_e32 v13, v31
	v_rcp_f32_e32 v14, v32
	v_rcp_f32_e32 v15, v33
	v_add_f32_e32 v7, 1.0, v23
	v_add_f32_e32 v23, 1.0, v16
	;; [unrolled: 1-line block ×8, first 2 shown]
	v_rcp_f32_e32 v16, v7
	v_rcp_f32_e32 v17, v23
	;; [unrolled: 1-line block ×8, first 2 shown]
	global_store_dwordx4 v[24:25], v[8:11], off
	global_store_dwordx4 v[24:25], v[12:15], off offset:16
	global_store_dwordx4 v[26:27], v[16:19], off
	global_store_dwordx4 v[26:27], v[20:23], off offset:16
	s_cbranch_scc1 .LBB1_6
.LBB1_7:
	s_endpgm
	.section	.rodata,"a",@progbits
	.p2align	6, 0x0
	.amdhsa_kernel _ZN5aiter26unary_operator_tile_kernelIfLi8ELi8ENS_9SigmoidOpEEEvPKvPviii
		.amdhsa_group_segment_fixed_size 0
		.amdhsa_private_segment_fixed_size 0
		.amdhsa_kernarg_size 288
		.amdhsa_user_sgpr_count 6
		.amdhsa_user_sgpr_private_segment_buffer 1
		.amdhsa_user_sgpr_dispatch_ptr 0
		.amdhsa_user_sgpr_queue_ptr 0
		.amdhsa_user_sgpr_kernarg_segment_ptr 1
		.amdhsa_user_sgpr_dispatch_id 0
		.amdhsa_user_sgpr_flat_scratch_init 0
		.amdhsa_user_sgpr_kernarg_preload_length 0
		.amdhsa_user_sgpr_kernarg_preload_offset 0
		.amdhsa_user_sgpr_private_segment_size 0
		.amdhsa_uses_dynamic_stack 0
		.amdhsa_system_sgpr_private_segment_wavefront_offset 0
		.amdhsa_system_sgpr_workgroup_id_x 1
		.amdhsa_system_sgpr_workgroup_id_y 0
		.amdhsa_system_sgpr_workgroup_id_z 0
		.amdhsa_system_sgpr_workgroup_info 0
		.amdhsa_system_vgpr_workitem_id 0
		.amdhsa_next_free_vgpr 34
		.amdhsa_next_free_sgpr 16
		.amdhsa_accum_offset 36
		.amdhsa_reserve_vcc 1
		.amdhsa_reserve_flat_scratch 0
		.amdhsa_float_round_mode_32 0
		.amdhsa_float_round_mode_16_64 0
		.amdhsa_float_denorm_mode_32 3
		.amdhsa_float_denorm_mode_16_64 3
		.amdhsa_dx10_clamp 1
		.amdhsa_ieee_mode 1
		.amdhsa_fp16_overflow 0
		.amdhsa_tg_split 0
		.amdhsa_exception_fp_ieee_invalid_op 0
		.amdhsa_exception_fp_denorm_src 0
		.amdhsa_exception_fp_ieee_div_zero 0
		.amdhsa_exception_fp_ieee_overflow 0
		.amdhsa_exception_fp_ieee_underflow 0
		.amdhsa_exception_fp_ieee_inexact 0
		.amdhsa_exception_int_div_zero 0
	.end_amdhsa_kernel
	.section	.text._ZN5aiter26unary_operator_tile_kernelIfLi8ELi8ENS_9SigmoidOpEEEvPKvPviii,"axG",@progbits,_ZN5aiter26unary_operator_tile_kernelIfLi8ELi8ENS_9SigmoidOpEEEvPKvPviii,comdat
.Lfunc_end1:
	.size	_ZN5aiter26unary_operator_tile_kernelIfLi8ELi8ENS_9SigmoidOpEEEvPKvPviii, .Lfunc_end1-_ZN5aiter26unary_operator_tile_kernelIfLi8ELi8ENS_9SigmoidOpEEEvPKvPviii
                                        ; -- End function
	.section	.AMDGPU.csdata,"",@progbits
; Kernel info:
; codeLenInByte = 1572
; NumSgprs: 20
; NumVgprs: 34
; NumAgprs: 0
; TotalNumVgprs: 34
; ScratchSize: 0
; MemoryBound: 0
; FloatMode: 240
; IeeeMode: 1
; LDSByteSize: 0 bytes/workgroup (compile time only)
; SGPRBlocks: 2
; VGPRBlocks: 4
; NumSGPRsForWavesPerEU: 20
; NumVGPRsForWavesPerEU: 34
; AccumOffset: 36
; Occupancy: 8
; WaveLimiterHint : 0
; COMPUTE_PGM_RSRC2:SCRATCH_EN: 0
; COMPUTE_PGM_RSRC2:USER_SGPR: 6
; COMPUTE_PGM_RSRC2:TRAP_HANDLER: 0
; COMPUTE_PGM_RSRC2:TGID_X_EN: 1
; COMPUTE_PGM_RSRC2:TGID_Y_EN: 0
; COMPUTE_PGM_RSRC2:TGID_Z_EN: 0
; COMPUTE_PGM_RSRC2:TIDIG_COMP_CNT: 0
; COMPUTE_PGM_RSRC3_GFX90A:ACCUM_OFFSET: 8
; COMPUTE_PGM_RSRC3_GFX90A:TG_SPLIT: 0
	.section	.text._ZN5aiter26unary_operator_tile_kernelIN3c104HalfELi8ELi8ENS_9SigmoidOpEEEvPKvPviii,"axG",@progbits,_ZN5aiter26unary_operator_tile_kernelIN3c104HalfELi8ELi8ENS_9SigmoidOpEEEvPKvPviii,comdat
	.protected	_ZN5aiter26unary_operator_tile_kernelIN3c104HalfELi8ELi8ENS_9SigmoidOpEEEvPKvPviii ; -- Begin function _ZN5aiter26unary_operator_tile_kernelIN3c104HalfELi8ELi8ENS_9SigmoidOpEEEvPKvPviii
	.globl	_ZN5aiter26unary_operator_tile_kernelIN3c104HalfELi8ELi8ENS_9SigmoidOpEEEvPKvPviii
	.p2align	8
	.type	_ZN5aiter26unary_operator_tile_kernelIN3c104HalfELi8ELi8ENS_9SigmoidOpEEEvPKvPviii,@function
_ZN5aiter26unary_operator_tile_kernelIN3c104HalfELi8ELi8ENS_9SigmoidOpEEEvPKvPviii: ; @_ZN5aiter26unary_operator_tile_kernelIN3c104HalfELi8ELi8ENS_9SigmoidOpEEEvPKvPviii
; %bb.0:
	s_load_dword s7, s[4:5], 0x2c
	s_load_dwordx4 s[0:3], s[4:5], 0x10
	v_mov_b32_e32 v2, 0
	v_mov_b32_e32 v1, v2
	;; [unrolled: 1-line block ×3, first 2 shown]
	s_waitcnt lgkmcnt(0)
	s_and_b32 s3, s7, 0xffff
	v_mad_u64_u32 v[0:1], s[6:7], s3, v3, v[0:1]
	s_ashr_i32 s11, s1, 31
	s_ashr_i32 s10, s2, 31
	s_lshr_b32 s3, s11, 29
	s_lshr_b32 s6, s10, 29
	s_add_i32 s3, s1, s3
	s_add_i32 s6, s2, s6
	s_ashr_i32 s3, s3, 3
	s_ashr_i32 s12, s6, 3
	;; [unrolled: 1-line block ×3, first 2 shown]
	s_mul_i32 s6, s3, s6
	s_mul_hi_u32 s7, s3, s0
	s_add_i32 s6, s7, s6
	s_mul_i32 s0, s3, s0
	s_mul_hi_u32 s7, s0, s12
	s_mul_i32 s6, s6, s12
	s_add_i32 s7, s7, s6
	s_mul_i32 s6, s0, s12
	v_cmp_gt_u64_e32 vcc, s[6:7], v[0:1]
	s_and_saveexec_b64 s[6:7], vcc
	s_cbranch_execz .LBB2_7
; %bb.1:
	s_load_dwordx4 s[4:7], s[4:5], 0x0
	v_mov_b32_e32 v3, v1
	s_mul_i32 s0, s12, s3
	v_cmp_ne_u64_e32 vcc, 0, v[2:3]
                                        ; implicit-def: $vgpr4_vgpr5
	s_and_saveexec_b64 s[8:9], vcc
	s_xor_b64 s[8:9], exec, s[8:9]
	s_cbranch_execz .LBB2_3
; %bb.2:
	v_cvt_f32_u32_e32 v2, s0
	v_mov_b32_e32 v3, 0x4f800000
	s_sub_u32 s13, 0, s0
	s_subb_u32 s14, 0, 0
	v_mac_f32_e32 v2, 0, v3
	v_rcp_f32_e32 v2, v2
	v_mul_f32_e32 v2, 0x5f7ffffc, v2
	v_mul_f32_e32 v3, 0x2f800000, v2
	v_trunc_f32_e32 v3, v3
	v_madmk_f32 v2, v3, 0xcf800000, v2
	v_cvt_u32_f32_e32 v3, v3
	v_cvt_u32_f32_e32 v2, v2
	v_mul_lo_u32 v4, s13, v3
	v_mul_hi_u32 v6, s13, v2
	v_mul_lo_u32 v5, s14, v2
	v_add_u32_e32 v4, v6, v4
	v_mul_lo_u32 v7, s13, v2
	v_add_u32_e32 v4, v4, v5
	v_mul_hi_u32 v6, v2, v7
	v_mul_lo_u32 v8, v2, v4
	v_mul_hi_u32 v5, v2, v4
	v_add_co_u32_e32 v6, vcc, v6, v8
	v_addc_co_u32_e32 v5, vcc, 0, v5, vcc
	v_mul_hi_u32 v9, v3, v7
	v_mul_lo_u32 v7, v3, v7
	v_add_co_u32_e32 v6, vcc, v6, v7
	v_mul_hi_u32 v8, v3, v4
	v_addc_co_u32_e32 v5, vcc, v5, v9, vcc
	v_addc_co_u32_e32 v6, vcc, 0, v8, vcc
	v_mul_lo_u32 v4, v3, v4
	v_add_co_u32_e32 v4, vcc, v5, v4
	v_addc_co_u32_e32 v5, vcc, 0, v6, vcc
	v_add_co_u32_e32 v2, vcc, v2, v4
	v_addc_co_u32_e32 v3, vcc, v3, v5, vcc
	v_mul_lo_u32 v4, s13, v3
	v_mul_hi_u32 v5, s13, v2
	v_add_u32_e32 v4, v5, v4
	v_mul_lo_u32 v5, s14, v2
	v_add_u32_e32 v4, v4, v5
	v_mul_lo_u32 v6, s13, v2
	v_mul_hi_u32 v7, v3, v6
	v_mul_lo_u32 v8, v3, v6
	v_mul_lo_u32 v10, v2, v4
	v_mul_hi_u32 v6, v2, v6
	v_mul_hi_u32 v9, v2, v4
	v_add_co_u32_e32 v6, vcc, v6, v10
	v_addc_co_u32_e32 v9, vcc, 0, v9, vcc
	v_add_co_u32_e32 v6, vcc, v6, v8
	v_mul_hi_u32 v5, v3, v4
	v_addc_co_u32_e32 v6, vcc, v9, v7, vcc
	v_addc_co_u32_e32 v5, vcc, 0, v5, vcc
	v_mul_lo_u32 v4, v3, v4
	v_add_co_u32_e32 v4, vcc, v6, v4
	v_addc_co_u32_e32 v5, vcc, 0, v5, vcc
	v_add_co_u32_e32 v4, vcc, v2, v4
	v_addc_co_u32_e32 v5, vcc, v3, v5, vcc
	v_mad_u64_u32 v[2:3], s[14:15], v0, v5, 0
	v_mul_hi_u32 v6, v0, v4
	v_add_co_u32_e32 v6, vcc, v6, v2
	v_addc_co_u32_e32 v7, vcc, 0, v3, vcc
	v_mad_u64_u32 v[2:3], s[14:15], v1, v5, 0
	v_mad_u64_u32 v[4:5], s[14:15], v1, v4, 0
	v_add_co_u32_e32 v4, vcc, v6, v4
	v_addc_co_u32_e32 v4, vcc, v7, v5, vcc
	v_addc_co_u32_e32 v3, vcc, 0, v3, vcc
	v_add_co_u32_e32 v6, vcc, v4, v2
	v_addc_co_u32_e32 v5, vcc, 0, v3, vcc
	v_mad_u64_u32 v[2:3], s[14:15], s0, v6, 0
	v_mov_b32_e32 v4, v3
	v_mad_u64_u32 v[4:5], s[14:15], s0, v5, v[4:5]
	v_sub_co_u32_e32 v2, vcc, v0, v2
	v_subb_co_u32_e32 v1, vcc, v1, v4, vcc
	v_subrev_co_u32_e32 v3, vcc, s0, v2
	v_subbrev_co_u32_e32 v4, vcc, 0, v1, vcc
	v_cmp_le_u32_e32 vcc, s0, v3
	v_cndmask_b32_e64 v3, 0, -1, vcc
	v_cmp_eq_u32_e32 vcc, 0, v4
	v_cndmask_b32_e32 v3, -1, v3, vcc
	v_add_co_u32_e32 v4, vcc, 2, v6
	v_add_co_u32_e32 v5, vcc, 1, v6
	v_cmp_le_u32_e32 vcc, s0, v2
	v_cndmask_b32_e64 v2, 0, -1, vcc
	v_cmp_eq_u32_e32 vcc, 0, v1
	v_cndmask_b32_e32 v1, -1, v2, vcc
	v_cmp_ne_u32_e32 vcc, 0, v3
	v_cndmask_b32_e32 v2, v5, v4, vcc
	v_cmp_ne_u32_e32 vcc, 0, v1
	v_cndmask_b32_e32 v4, v6, v2, vcc
.LBB2_3:
	s_andn2_saveexec_b64 s[8:9], s[8:9]
	s_cbranch_execz .LBB2_5
; %bb.4:
	v_cvt_f32_u32_e32 v1, s0
	s_sub_i32 s13, 0, s0
	v_rcp_iflag_f32_e32 v1, v1
	v_mul_f32_e32 v1, 0x4f7ffffe, v1
	v_cvt_u32_f32_e32 v1, v1
	v_mul_lo_u32 v2, s13, v1
	v_mul_hi_u32 v2, v1, v2
	v_add_u32_e32 v1, v1, v2
	v_mul_hi_u32 v1, v0, v1
	v_mul_lo_u32 v2, v1, s0
	v_sub_u32_e32 v2, v0, v2
	v_add_u32_e32 v3, 1, v1
	v_subrev_u32_e32 v4, s0, v2
	v_cmp_le_u32_e32 vcc, s0, v2
	v_cndmask_b32_e32 v2, v2, v4, vcc
	v_cndmask_b32_e32 v1, v1, v3, vcc
	v_add_u32_e32 v3, 1, v1
	v_cmp_le_u32_e32 vcc, s0, v2
	v_cndmask_b32_e32 v4, v1, v3, vcc
.LBB2_5:
	s_or_b64 exec, exec, s[8:9]
	v_cvt_f32_u32_e32 v1, s12
	v_cvt_f32_u32_e32 v3, s3
	v_mul_lo_u32 v2, v4, s0
	s_sub_i32 s0, 0, s12
	v_rcp_iflag_f32_e32 v1, v1
	v_sub_u32_e32 v0, v0, v2
	v_rcp_iflag_f32_e32 v2, v3
	v_mul_f32_e32 v1, 0x4f7ffffe, v1
	v_cvt_u32_f32_e32 v1, v1
	v_mul_f32_e32 v2, 0x4f7ffffe, v2
	v_cvt_u32_f32_e32 v2, v2
	v_mul_lo_u32 v3, s0, v1
	v_mul_hi_u32 v3, v1, v3
	v_add_u32_e32 v1, v1, v3
	v_mul_hi_u32 v1, v0, v1
	v_mul_lo_u32 v3, v1, s12
	v_sub_u32_e32 v3, v0, v3
	v_add_u32_e32 v5, 1, v1
	v_cmp_le_u32_e32 vcc, s12, v3
	v_cndmask_b32_e32 v1, v1, v5, vcc
	v_subrev_u32_e32 v5, s12, v3
	v_cndmask_b32_e32 v3, v3, v5, vcc
	s_sub_i32 s0, 0, s3
	v_cmp_le_u32_e32 vcc, s12, v3
	v_mul_lo_u32 v3, s0, v2
	v_add_u32_e32 v5, 1, v1
	v_mul_hi_u32 v3, v2, v3
	v_cndmask_b32_e32 v1, v1, v5, vcc
	v_add_u32_e32 v2, v2, v3
	v_mul_hi_u32 v2, v1, v2
	v_mul_lo_u32 v2, v2, s3
	v_sub_u32_e32 v2, v1, v2
	v_subrev_u32_e32 v3, s3, v2
	v_cmp_le_u32_e32 vcc, s3, v2
	v_cndmask_b32_e32 v2, v2, v3, vcc
	v_subrev_u32_e32 v3, s3, v2
	v_cmp_le_u32_e32 vcc, s3, v2
	v_cndmask_b32_e32 v5, v2, v3, vcc
	v_mad_u64_u32 v[2:3], s[0:1], v4, s1, 0
	v_mul_lo_u32 v1, v1, s12
	v_mov_b32_e32 v6, v3
	v_sub_u32_e32 v0, v0, v1
	v_mad_u64_u32 v[6:7], s[0:1], v4, s11, v[6:7]
	v_lshlrev_b32_e32 v0, 3, v0
	v_mov_b32_e32 v1, 0
	v_mov_b32_e32 v3, v6
	s_mov_b32 s0, 8
	s_waitcnt lgkmcnt(0)
	v_mov_b32_e32 v4, s5
	v_mov_b32_e32 v6, s7
.LBB2_6:                                ; =>This Inner Loop Header: Depth=1
	v_add_co_u32_e32 v7, vcc, v2, v5
	v_addc_co_u32_e32 v8, vcc, 0, v3, vcc
	v_mul_lo_u32 v10, v7, s10
	v_mul_lo_u32 v11, v8, s2
	v_mad_u64_u32 v[8:9], s[8:9], v7, s2, v[0:1]
	v_add3_u32 v9, v11, v9, v10
	v_lshlrev_b64 v[12:13], 1, v[8:9]
	v_add_co_u32_e32 v8, vcc, s4, v12
	v_addc_co_u32_e32 v9, vcc, v4, v13, vcc
	global_load_dwordx4 v[8:11], v[8:9], off
	s_add_i32 s0, s0, -1
	v_add_co_u32_e32 v12, vcc, s6, v12
	v_add_u32_e32 v5, s3, v5
	s_cmp_lg_u32 s0, 0
	v_addc_co_u32_e32 v13, vcc, v6, v13, vcc
	s_waitcnt vmcnt(0)
	v_cvt_f32_f16_e64 v7, -v8
	v_cvt_f32_f16_sdwa v8, -v8 dst_sel:DWORD dst_unused:UNUSED_PAD src0_sel:WORD_1
	v_cvt_f32_f16_e64 v14, -v9
	v_cvt_f32_f16_sdwa v9, -v9 dst_sel:DWORD dst_unused:UNUSED_PAD src0_sel:WORD_1
	;; [unrolled: 2-line block ×4, first 2 shown]
	v_mul_f32_e32 v7, 0x3fb8aa3b, v7
	v_mul_f32_e32 v8, 0x3fb8aa3b, v8
	;; [unrolled: 1-line block ×8, first 2 shown]
	v_exp_f32_e32 v7, v7
	v_exp_f32_e32 v8, v8
	;; [unrolled: 1-line block ×8, first 2 shown]
	v_add_f32_e32 v7, 1.0, v7
	v_add_f32_e32 v8, 1.0, v8
	;; [unrolled: 1-line block ×8, first 2 shown]
	v_rcp_f32_e32 v7, v7
	v_rcp_f32_e32 v8, v8
	;; [unrolled: 1-line block ×8, first 2 shown]
	v_cvt_f16_f32_e32 v7, v7
	v_cvt_f16_f32_e32 v14, v14
	;; [unrolled: 1-line block ×8, first 2 shown]
	v_pack_b32_f16 v11, v16, v11
	v_pack_b32_f16 v10, v15, v10
	;; [unrolled: 1-line block ×4, first 2 shown]
	global_store_dwordx4 v[12:13], v[8:11], off
	s_cbranch_scc1 .LBB2_6
.LBB2_7:
	s_endpgm
	.section	.rodata,"a",@progbits
	.p2align	6, 0x0
	.amdhsa_kernel _ZN5aiter26unary_operator_tile_kernelIN3c104HalfELi8ELi8ENS_9SigmoidOpEEEvPKvPviii
		.amdhsa_group_segment_fixed_size 0
		.amdhsa_private_segment_fixed_size 0
		.amdhsa_kernarg_size 288
		.amdhsa_user_sgpr_count 6
		.amdhsa_user_sgpr_private_segment_buffer 1
		.amdhsa_user_sgpr_dispatch_ptr 0
		.amdhsa_user_sgpr_queue_ptr 0
		.amdhsa_user_sgpr_kernarg_segment_ptr 1
		.amdhsa_user_sgpr_dispatch_id 0
		.amdhsa_user_sgpr_flat_scratch_init 0
		.amdhsa_user_sgpr_kernarg_preload_length 0
		.amdhsa_user_sgpr_kernarg_preload_offset 0
		.amdhsa_user_sgpr_private_segment_size 0
		.amdhsa_uses_dynamic_stack 0
		.amdhsa_system_sgpr_private_segment_wavefront_offset 0
		.amdhsa_system_sgpr_workgroup_id_x 1
		.amdhsa_system_sgpr_workgroup_id_y 0
		.amdhsa_system_sgpr_workgroup_id_z 0
		.amdhsa_system_sgpr_workgroup_info 0
		.amdhsa_system_vgpr_workitem_id 0
		.amdhsa_next_free_vgpr 17
		.amdhsa_next_free_sgpr 16
		.amdhsa_accum_offset 20
		.amdhsa_reserve_vcc 1
		.amdhsa_reserve_flat_scratch 0
		.amdhsa_float_round_mode_32 0
		.amdhsa_float_round_mode_16_64 0
		.amdhsa_float_denorm_mode_32 3
		.amdhsa_float_denorm_mode_16_64 3
		.amdhsa_dx10_clamp 1
		.amdhsa_ieee_mode 1
		.amdhsa_fp16_overflow 0
		.amdhsa_tg_split 0
		.amdhsa_exception_fp_ieee_invalid_op 0
		.amdhsa_exception_fp_denorm_src 0
		.amdhsa_exception_fp_ieee_div_zero 0
		.amdhsa_exception_fp_ieee_overflow 0
		.amdhsa_exception_fp_ieee_underflow 0
		.amdhsa_exception_fp_ieee_inexact 0
		.amdhsa_exception_int_div_zero 0
	.end_amdhsa_kernel
	.section	.text._ZN5aiter26unary_operator_tile_kernelIN3c104HalfELi8ELi8ENS_9SigmoidOpEEEvPKvPviii,"axG",@progbits,_ZN5aiter26unary_operator_tile_kernelIN3c104HalfELi8ELi8ENS_9SigmoidOpEEEvPKvPviii,comdat
.Lfunc_end2:
	.size	_ZN5aiter26unary_operator_tile_kernelIN3c104HalfELi8ELi8ENS_9SigmoidOpEEEvPKvPviii, .Lfunc_end2-_ZN5aiter26unary_operator_tile_kernelIN3c104HalfELi8ELi8ENS_9SigmoidOpEEEvPKvPviii
                                        ; -- End function
	.section	.AMDGPU.csdata,"",@progbits
; Kernel info:
; codeLenInByte = 1408
; NumSgprs: 20
; NumVgprs: 17
; NumAgprs: 0
; TotalNumVgprs: 17
; ScratchSize: 0
; MemoryBound: 0
; FloatMode: 240
; IeeeMode: 1
; LDSByteSize: 0 bytes/workgroup (compile time only)
; SGPRBlocks: 2
; VGPRBlocks: 2
; NumSGPRsForWavesPerEU: 20
; NumVGPRsForWavesPerEU: 17
; AccumOffset: 20
; Occupancy: 8
; WaveLimiterHint : 0
; COMPUTE_PGM_RSRC2:SCRATCH_EN: 0
; COMPUTE_PGM_RSRC2:USER_SGPR: 6
; COMPUTE_PGM_RSRC2:TRAP_HANDLER: 0
; COMPUTE_PGM_RSRC2:TGID_X_EN: 1
; COMPUTE_PGM_RSRC2:TGID_Y_EN: 0
; COMPUTE_PGM_RSRC2:TGID_Z_EN: 0
; COMPUTE_PGM_RSRC2:TIDIG_COMP_CNT: 0
; COMPUTE_PGM_RSRC3_GFX90A:ACCUM_OFFSET: 4
; COMPUTE_PGM_RSRC3_GFX90A:TG_SPLIT: 0
	.section	.text._ZN5aiter26unary_operator_tile_kernelIN3c108BFloat16ELi8ELi8ENS_9SigmoidOpEEEvPKvPviii,"axG",@progbits,_ZN5aiter26unary_operator_tile_kernelIN3c108BFloat16ELi8ELi8ENS_9SigmoidOpEEEvPKvPviii,comdat
	.protected	_ZN5aiter26unary_operator_tile_kernelIN3c108BFloat16ELi8ELi8ENS_9SigmoidOpEEEvPKvPviii ; -- Begin function _ZN5aiter26unary_operator_tile_kernelIN3c108BFloat16ELi8ELi8ENS_9SigmoidOpEEEvPKvPviii
	.globl	_ZN5aiter26unary_operator_tile_kernelIN3c108BFloat16ELi8ELi8ENS_9SigmoidOpEEEvPKvPviii
	.p2align	8
	.type	_ZN5aiter26unary_operator_tile_kernelIN3c108BFloat16ELi8ELi8ENS_9SigmoidOpEEEvPKvPviii,@function
_ZN5aiter26unary_operator_tile_kernelIN3c108BFloat16ELi8ELi8ENS_9SigmoidOpEEEvPKvPviii: ; @_ZN5aiter26unary_operator_tile_kernelIN3c108BFloat16ELi8ELi8ENS_9SigmoidOpEEEvPKvPviii
; %bb.0:
	s_load_dword s0, s[4:5], 0x2c
	s_load_dwordx4 s[8:11], s[4:5], 0x10
	v_mov_b32_e32 v2, 0
	v_mov_b32_e32 v1, v2
	;; [unrolled: 1-line block ×3, first 2 shown]
	s_waitcnt lgkmcnt(0)
	s_and_b32 s0, s0, 0xffff
	v_mad_u64_u32 v[0:1], s[0:1], s0, v3, v[0:1]
	s_ashr_i32 s2, s9, 31
	s_lshr_b32 s0, s2, 29
	s_add_i32 s0, s9, s0
	s_ashr_i32 s7, s10, 31
	s_ashr_i32 s6, s0, 3
	s_lshr_b32 s0, s7, 29
	s_add_i32 s0, s10, s0
	s_ashr_i32 s3, s0, 3
	s_ashr_i32 s0, s8, 31
	s_mul_i32 s0, s6, s0
	s_mul_hi_u32 s1, s6, s8
	s_add_i32 s0, s1, s0
	s_mul_i32 s8, s6, s8
	s_mul_hi_u32 s1, s8, s3
	s_mul_i32 s0, s0, s3
	s_add_i32 s1, s1, s0
	s_mul_i32 s0, s8, s3
	v_cmp_gt_u64_e32 vcc, s[0:1], v[0:1]
	s_and_saveexec_b64 s[0:1], vcc
	s_cbranch_execz .LBB3_7
; %bb.1:
	s_load_dwordx4 s[12:15], s[4:5], 0x0
	v_mov_b32_e32 v3, v1
	s_mul_i32 s4, s3, s6
	v_cmp_ne_u64_e32 vcc, 0, v[2:3]
                                        ; implicit-def: $vgpr4_vgpr5
	s_and_saveexec_b64 s[0:1], vcc
	s_xor_b64 s[0:1], exec, s[0:1]
	s_cbranch_execz .LBB3_3
; %bb.2:
	v_cvt_f32_u32_e32 v2, s4
	v_mov_b32_e32 v3, 0x4f800000
	s_sub_u32 s5, 0, s4
	s_subb_u32 s8, 0, 0
	v_mac_f32_e32 v2, 0, v3
	v_rcp_f32_e32 v2, v2
	v_mul_f32_e32 v2, 0x5f7ffffc, v2
	v_mul_f32_e32 v3, 0x2f800000, v2
	v_trunc_f32_e32 v3, v3
	v_madmk_f32 v2, v3, 0xcf800000, v2
	v_cvt_u32_f32_e32 v3, v3
	v_cvt_u32_f32_e32 v2, v2
	v_mul_lo_u32 v4, s5, v3
	v_mul_hi_u32 v6, s5, v2
	v_mul_lo_u32 v5, s8, v2
	v_add_u32_e32 v4, v6, v4
	v_mul_lo_u32 v7, s5, v2
	v_add_u32_e32 v4, v4, v5
	v_mul_hi_u32 v6, v2, v7
	v_mul_lo_u32 v8, v2, v4
	v_mul_hi_u32 v5, v2, v4
	v_add_co_u32_e32 v6, vcc, v6, v8
	v_addc_co_u32_e32 v5, vcc, 0, v5, vcc
	v_mul_hi_u32 v9, v3, v7
	v_mul_lo_u32 v7, v3, v7
	v_add_co_u32_e32 v6, vcc, v6, v7
	v_mul_hi_u32 v8, v3, v4
	v_addc_co_u32_e32 v5, vcc, v5, v9, vcc
	v_addc_co_u32_e32 v6, vcc, 0, v8, vcc
	v_mul_lo_u32 v4, v3, v4
	v_add_co_u32_e32 v4, vcc, v5, v4
	v_addc_co_u32_e32 v5, vcc, 0, v6, vcc
	v_add_co_u32_e32 v2, vcc, v2, v4
	v_addc_co_u32_e32 v3, vcc, v3, v5, vcc
	v_mul_lo_u32 v4, s5, v3
	v_mul_hi_u32 v5, s5, v2
	v_add_u32_e32 v4, v5, v4
	v_mul_lo_u32 v5, s8, v2
	v_add_u32_e32 v4, v4, v5
	v_mul_lo_u32 v6, s5, v2
	v_mul_hi_u32 v7, v3, v6
	v_mul_lo_u32 v8, v3, v6
	v_mul_lo_u32 v10, v2, v4
	v_mul_hi_u32 v6, v2, v6
	v_mul_hi_u32 v9, v2, v4
	v_add_co_u32_e32 v6, vcc, v6, v10
	v_addc_co_u32_e32 v9, vcc, 0, v9, vcc
	v_add_co_u32_e32 v6, vcc, v6, v8
	v_mul_hi_u32 v5, v3, v4
	v_addc_co_u32_e32 v6, vcc, v9, v7, vcc
	v_addc_co_u32_e32 v5, vcc, 0, v5, vcc
	v_mul_lo_u32 v4, v3, v4
	v_add_co_u32_e32 v4, vcc, v6, v4
	v_addc_co_u32_e32 v5, vcc, 0, v5, vcc
	v_add_co_u32_e32 v4, vcc, v2, v4
	v_addc_co_u32_e32 v5, vcc, v3, v5, vcc
	v_mad_u64_u32 v[2:3], s[16:17], v0, v5, 0
	v_mul_hi_u32 v6, v0, v4
	v_add_co_u32_e32 v6, vcc, v6, v2
	v_addc_co_u32_e32 v7, vcc, 0, v3, vcc
	v_mad_u64_u32 v[2:3], s[16:17], v1, v5, 0
	v_mad_u64_u32 v[4:5], s[16:17], v1, v4, 0
	v_add_co_u32_e32 v4, vcc, v6, v4
	v_addc_co_u32_e32 v4, vcc, v7, v5, vcc
	v_addc_co_u32_e32 v3, vcc, 0, v3, vcc
	v_add_co_u32_e32 v6, vcc, v4, v2
	v_addc_co_u32_e32 v5, vcc, 0, v3, vcc
	v_mad_u64_u32 v[2:3], s[16:17], s4, v6, 0
	v_mov_b32_e32 v4, v3
	v_mad_u64_u32 v[4:5], s[16:17], s4, v5, v[4:5]
	v_sub_co_u32_e32 v2, vcc, v0, v2
	v_subb_co_u32_e32 v1, vcc, v1, v4, vcc
	v_subrev_co_u32_e32 v3, vcc, s4, v2
	v_subbrev_co_u32_e32 v4, vcc, 0, v1, vcc
	v_cmp_le_u32_e32 vcc, s4, v3
	v_cndmask_b32_e64 v3, 0, -1, vcc
	v_cmp_eq_u32_e32 vcc, 0, v4
	v_cndmask_b32_e32 v3, -1, v3, vcc
	v_add_co_u32_e32 v4, vcc, 2, v6
	v_add_co_u32_e32 v5, vcc, 1, v6
	v_cmp_le_u32_e32 vcc, s4, v2
	v_cndmask_b32_e64 v2, 0, -1, vcc
	v_cmp_eq_u32_e32 vcc, 0, v1
	v_cndmask_b32_e32 v1, -1, v2, vcc
	v_cmp_ne_u32_e32 vcc, 0, v3
	v_cndmask_b32_e32 v2, v5, v4, vcc
	v_cmp_ne_u32_e32 vcc, 0, v1
	v_cndmask_b32_e32 v4, v6, v2, vcc
.LBB3_3:
	s_andn2_saveexec_b64 s[0:1], s[0:1]
	s_cbranch_execz .LBB3_5
; %bb.4:
	v_cvt_f32_u32_e32 v1, s4
	s_sub_i32 s5, 0, s4
	v_rcp_iflag_f32_e32 v1, v1
	v_mul_f32_e32 v1, 0x4f7ffffe, v1
	v_cvt_u32_f32_e32 v1, v1
	v_mul_lo_u32 v2, s5, v1
	v_mul_hi_u32 v2, v1, v2
	v_add_u32_e32 v1, v1, v2
	v_mul_hi_u32 v1, v0, v1
	v_mul_lo_u32 v2, v1, s4
	v_sub_u32_e32 v2, v0, v2
	v_add_u32_e32 v3, 1, v1
	v_subrev_u32_e32 v4, s4, v2
	v_cmp_le_u32_e32 vcc, s4, v2
	v_cndmask_b32_e32 v2, v2, v4, vcc
	v_cndmask_b32_e32 v1, v1, v3, vcc
	v_add_u32_e32 v3, 1, v1
	v_cmp_le_u32_e32 vcc, s4, v2
	v_cndmask_b32_e32 v4, v1, v3, vcc
.LBB3_5:
	s_or_b64 exec, exec, s[0:1]
	v_cvt_f32_u32_e32 v1, s3
	v_cvt_f32_u32_e32 v3, s6
	v_mul_lo_u32 v2, v4, s4
	s_sub_i32 s0, 0, s3
	v_rcp_iflag_f32_e32 v1, v1
	v_sub_u32_e32 v0, v0, v2
	v_rcp_iflag_f32_e32 v2, v3
	s_mov_b32 s8, 8
	v_mul_f32_e32 v1, 0x4f7ffffe, v1
	v_cvt_u32_f32_e32 v1, v1
	v_mul_f32_e32 v2, 0x4f7ffffe, v2
	v_cvt_u32_f32_e32 v2, v2
	s_waitcnt lgkmcnt(0)
	v_mov_b32_e32 v7, s13
	v_mul_lo_u32 v3, s0, v1
	v_mul_hi_u32 v3, v1, v3
	v_add_u32_e32 v1, v1, v3
	v_mul_hi_u32 v1, v0, v1
	v_mul_lo_u32 v3, v1, s3
	v_sub_u32_e32 v3, v0, v3
	v_add_u32_e32 v5, 1, v1
	v_cmp_le_u32_e32 vcc, s3, v3
	v_cndmask_b32_e32 v1, v1, v5, vcc
	v_subrev_u32_e32 v5, s3, v3
	v_cndmask_b32_e32 v3, v3, v5, vcc
	s_sub_i32 s0, 0, s6
	v_cmp_le_u32_e32 vcc, s3, v3
	v_mul_lo_u32 v3, s0, v2
	v_add_u32_e32 v5, 1, v1
	v_mul_hi_u32 v3, v2, v3
	v_cndmask_b32_e32 v1, v1, v5, vcc
	v_add_u32_e32 v2, v2, v3
	v_mul_hi_u32 v2, v1, v2
	v_mul_lo_u32 v2, v2, s6
	v_sub_u32_e32 v2, v1, v2
	v_subrev_u32_e32 v3, s6, v2
	v_cmp_le_u32_e32 vcc, s6, v2
	v_cndmask_b32_e32 v2, v2, v3, vcc
	v_subrev_u32_e32 v3, s6, v2
	v_cmp_le_u32_e32 vcc, s6, v2
	v_cndmask_b32_e32 v6, v2, v3, vcc
	v_mad_u64_u32 v[2:3], s[0:1], v4, s9, 0
	v_mul_lo_u32 v1, v1, s3
	v_mov_b32_e32 v8, v3
	v_sub_u32_e32 v0, v0, v1
	v_mad_u64_u32 v[4:5], s[0:1], v4, s2, v[8:9]
	v_lshlrev_b32_e32 v0, 3, v0
	v_mov_b32_e32 v1, 0
	v_mov_b32_e32 v3, v4
	;; [unrolled: 1-line block ×3, first 2 shown]
	s_movk_i32 s9, 0x7fff
	v_mov_b32_e32 v9, 0x7fc0
	s_mov_b32 s11, 0x5040100
.LBB3_6:                                ; =>This Inner Loop Header: Depth=1
	v_add_co_u32_e32 v4, vcc, v2, v6
	v_addc_co_u32_e32 v5, vcc, 0, v3, vcc
	v_mul_lo_u32 v10, v4, s7
	v_mul_lo_u32 v11, v5, s10
	v_mad_u64_u32 v[4:5], s[0:1], v4, s10, v[0:1]
	v_add3_u32 v5, v11, v5, v10
	v_lshlrev_b64 v[4:5], 1, v[4:5]
	v_add_co_u32_e32 v10, vcc, s12, v4
	v_addc_co_u32_e32 v11, vcc, v7, v5, vcc
	global_load_dwordx4 v[10:13], v[10:11], off
	v_add_co_u32_e32 v4, vcc, s14, v4
	v_addc_co_u32_e32 v5, vcc, v8, v5, vcc
	s_add_i32 s8, s8, -1
	v_add_u32_e32 v6, s6, v6
	s_cmp_lg_u32 s8, 0
	s_waitcnt vmcnt(0)
	v_lshrrev_b16_e32 v14, 8, v10
	v_and_b32_e32 v15, 0xff, v10
	v_and_b32_e32 v10, 0xffff0000, v10
	v_lshrrev_b16_e32 v16, 8, v11
	v_and_b32_e32 v17, 0xff, v11
	v_and_b32_e32 v11, 0xffff0000, v11
	;; [unrolled: 3-line block ×4, first 2 shown]
	v_lshlrev_b32_e32 v14, 24, v14
	v_xor_b32_e32 v22, 0x80000000, v10
	v_lshlrev_b32_e32 v16, 24, v16
	v_xor_b32_e32 v23, 0x80000000, v11
	;; [unrolled: 2-line block ×4, first 2 shown]
	v_lshl_or_b32 v14, v15, 16, v14
	v_bfe_u32 v15, v22, 16, 1
	v_lshl_or_b32 v16, v17, 16, v16
	v_bfe_u32 v17, v23, 16, 1
	;; [unrolled: 2-line block ×4, first 2 shown]
	v_xor_b32_e32 v26, 0x80000000, v14
	v_add3_u32 v15, v22, v15, s9
	v_xor_b32_e32 v22, 0x80000000, v16
	v_add3_u32 v17, v23, v17, s9
	;; [unrolled: 2-line block ×4, first 2 shown]
	v_bfe_u32 v25, v26, 16, 1
	v_lshrrev_b32_e32 v15, 16, v15
	v_bfe_u32 v27, v22, 16, 1
	v_lshrrev_b32_e32 v17, 16, v17
	v_cmp_o_f32_e32 vcc, v11, v11
	v_bfe_u32 v11, v23, 16, 1
	v_lshrrev_b32_e32 v19, 16, v19
	v_cmp_o_f32_e64 s[0:1], v12, v12
	v_bfe_u32 v12, v24, 16, 1
	v_cmp_o_f32_e64 s[4:5], v10, v10
	v_lshrrev_b32_e32 v21, 16, v21
	v_cmp_o_f32_e64 s[2:3], v13, v13
	v_add3_u32 v10, v26, v25, s9
	v_cndmask_b32_e64 v13, v9, v15, s[4:5]
	v_add3_u32 v15, v22, v27, s9
	v_cndmask_b32_e32 v17, v9, v17, vcc
	v_add3_u32 v11, v23, v11, s9
	v_cndmask_b32_e64 v19, v9, v19, s[0:1]
	v_add3_u32 v12, v24, v12, s9
	v_cndmask_b32_e64 v21, v9, v21, s[2:3]
	v_lshrrev_b32_e32 v10, 16, v10
	v_lshrrev_b16_e32 v22, 8, v13
	v_and_b32_e32 v13, 0xff, v13
	v_lshrrev_b32_e32 v15, 16, v15
	v_cmp_o_f32_e32 vcc, v16, v16
	v_lshrrev_b16_e32 v16, 8, v17
	v_and_b32_e32 v17, 0xff, v17
	v_lshrrev_b32_e32 v11, 16, v11
	v_cmp_o_f32_e64 s[0:1], v18, v18
	v_lshrrev_b16_e32 v18, 8, v19
	v_and_b32_e32 v19, 0xff, v19
	v_lshrrev_b32_e32 v12, 16, v12
	v_cmp_o_f32_e64 s[2:3], v20, v20
	v_cmp_o_f32_e64 s[4:5], v14, v14
	v_lshrrev_b16_e32 v20, 8, v21
	v_and_b32_e32 v21, 0xff, v21
	v_cndmask_b32_e64 v10, v9, v10, s[4:5]
	v_lshlrev_b32_e32 v13, 16, v13
	v_cndmask_b32_e32 v14, v9, v15, vcc
	v_lshlrev_b32_e32 v15, 16, v17
	v_cndmask_b32_e64 v11, v9, v11, s[0:1]
	v_lshlrev_b32_e32 v17, 16, v19
	v_cndmask_b32_e64 v12, v9, v12, s[2:3]
	v_lshlrev_b32_e32 v19, 16, v21
	v_lshrrev_b16_e32 v21, 8, v10
	v_and_b32_e32 v10, 0xff, v10
	v_lshl_or_b32 v13, v22, 24, v13
	v_lshrrev_b16_e32 v22, 8, v14
	v_and_b32_e32 v14, 0xff, v14
	v_lshl_or_b32 v15, v16, 24, v15
	;; [unrolled: 3-line block ×4, first 2 shown]
	v_lshlrev_b32_e32 v10, 16, v10
	v_mul_f32_e32 v13, 0x3fb8aa3b, v13
	v_lshlrev_b32_e32 v14, 16, v14
	v_mul_f32_e32 v15, 0x3fb8aa3b, v15
	v_lshlrev_b32_e32 v11, 16, v11
	v_lshlrev_b32_e32 v12, 16, v12
	v_mul_f32_e32 v17, 0x3fb8aa3b, v17
	v_mul_f32_e32 v19, 0x3fb8aa3b, v19
	v_lshl_or_b32 v10, v21, 24, v10
	v_exp_f32_e32 v13, v13
	v_lshl_or_b32 v14, v22, 24, v14
	v_exp_f32_e32 v15, v15
	v_lshl_or_b32 v11, v16, 24, v11
	v_lshl_or_b32 v12, v18, 24, v12
	v_exp_f32_e32 v16, v17
	v_exp_f32_e32 v17, v19
	v_mul_f32_e32 v10, 0x3fb8aa3b, v10
	v_mul_f32_e32 v14, 0x3fb8aa3b, v14
	;; [unrolled: 1-line block ×4, first 2 shown]
	v_exp_f32_e32 v10, v10
	v_exp_f32_e32 v14, v14
	;; [unrolled: 1-line block ×4, first 2 shown]
	v_add_f32_e32 v13, 1.0, v13
	v_add_f32_e32 v15, 1.0, v15
	v_add_f32_e32 v16, 1.0, v16
	v_add_f32_e32 v17, 1.0, v17
	v_rcp_f32_e32 v13, v13
	v_rcp_f32_e32 v15, v15
	v_rcp_f32_e32 v16, v16
	v_rcp_f32_e32 v17, v17
	v_add_f32_e32 v10, 1.0, v10
	v_add_f32_e32 v14, 1.0, v14
	;; [unrolled: 1-line block ×4, first 2 shown]
	v_rcp_f32_e32 v10, v10
	v_rcp_f32_e32 v14, v14
	v_rcp_f32_e32 v11, v11
	v_rcp_f32_e32 v12, v12
	v_bfe_u32 v18, v13, 16, 1
	v_bfe_u32 v19, v15, 16, 1
	;; [unrolled: 1-line block ×4, first 2 shown]
	v_add3_u32 v19, v15, v19, s9
	v_add3_u32 v18, v13, v18, s9
	;; [unrolled: 1-line block ×4, first 2 shown]
	v_bfe_u32 v22, v10, 16, 1
	v_bfe_u32 v23, v14, 16, 1
	v_lshrrev_b32_e32 v18, 16, v18
	v_lshrrev_b32_e32 v19, 16, v19
	v_cmp_o_f32_e32 vcc, v15, v15
	v_bfe_u32 v15, v11, 16, 1
	v_bfe_u32 v24, v12, 16, 1
	v_cmp_o_f32_e64 s[4:5], v13, v13
	v_lshrrev_b32_e32 v20, 16, v20
	v_lshrrev_b32_e32 v21, 16, v21
	v_cmp_o_f32_e64 s[0:1], v16, v16
	v_cmp_o_f32_e64 s[2:3], v17, v17
	v_add3_u32 v13, v14, v23, s9
	v_add3_u32 v16, v10, v22, s9
	v_cndmask_b32_e64 v17, v9, v18, s[4:5]
	v_cndmask_b32_e32 v18, v9, v19, vcc
	v_add3_u32 v19, v12, v24, s9
	v_add3_u32 v15, v11, v15, s9
	v_cndmask_b32_e64 v20, v9, v20, s[0:1]
	v_cndmask_b32_e64 v21, v9, v21, s[2:3]
	v_lshrrev_b32_e32 v16, 16, v16
	v_lshrrev_b32_e32 v13, 16, v13
	v_cmp_o_f32_e32 vcc, v14, v14
	v_lshrrev_b32_e32 v14, 16, v15
	v_lshrrev_b32_e32 v15, 16, v19
	v_cmp_o_f32_e64 s[0:1], v11, v11
	v_cmp_o_f32_e64 s[2:3], v12, v12
	;; [unrolled: 1-line block ×3, first 2 shown]
	v_cndmask_b32_e64 v10, v9, v16, s[4:5]
	v_cndmask_b32_e32 v11, v9, v13, vcc
	v_cndmask_b32_e64 v12, v9, v14, s[0:1]
	v_cndmask_b32_e64 v13, v9, v15, s[2:3]
	v_perm_b32 v13, v21, v13, s11
	v_perm_b32 v12, v20, v12, s11
	;; [unrolled: 1-line block ×4, first 2 shown]
	global_store_dwordx4 v[4:5], v[10:13], off
	s_cbranch_scc1 .LBB3_6
.LBB3_7:
	s_endpgm
	.section	.rodata,"a",@progbits
	.p2align	6, 0x0
	.amdhsa_kernel _ZN5aiter26unary_operator_tile_kernelIN3c108BFloat16ELi8ELi8ENS_9SigmoidOpEEEvPKvPviii
		.amdhsa_group_segment_fixed_size 0
		.amdhsa_private_segment_fixed_size 0
		.amdhsa_kernarg_size 288
		.amdhsa_user_sgpr_count 6
		.amdhsa_user_sgpr_private_segment_buffer 1
		.amdhsa_user_sgpr_dispatch_ptr 0
		.amdhsa_user_sgpr_queue_ptr 0
		.amdhsa_user_sgpr_kernarg_segment_ptr 1
		.amdhsa_user_sgpr_dispatch_id 0
		.amdhsa_user_sgpr_flat_scratch_init 0
		.amdhsa_user_sgpr_kernarg_preload_length 0
		.amdhsa_user_sgpr_kernarg_preload_offset 0
		.amdhsa_user_sgpr_private_segment_size 0
		.amdhsa_uses_dynamic_stack 0
		.amdhsa_system_sgpr_private_segment_wavefront_offset 0
		.amdhsa_system_sgpr_workgroup_id_x 1
		.amdhsa_system_sgpr_workgroup_id_y 0
		.amdhsa_system_sgpr_workgroup_id_z 0
		.amdhsa_system_sgpr_workgroup_info 0
		.amdhsa_system_vgpr_workitem_id 0
		.amdhsa_next_free_vgpr 28
		.amdhsa_next_free_sgpr 18
		.amdhsa_accum_offset 28
		.amdhsa_reserve_vcc 1
		.amdhsa_reserve_flat_scratch 0
		.amdhsa_float_round_mode_32 0
		.amdhsa_float_round_mode_16_64 0
		.amdhsa_float_denorm_mode_32 3
		.amdhsa_float_denorm_mode_16_64 3
		.amdhsa_dx10_clamp 1
		.amdhsa_ieee_mode 1
		.amdhsa_fp16_overflow 0
		.amdhsa_tg_split 0
		.amdhsa_exception_fp_ieee_invalid_op 0
		.amdhsa_exception_fp_denorm_src 0
		.amdhsa_exception_fp_ieee_div_zero 0
		.amdhsa_exception_fp_ieee_overflow 0
		.amdhsa_exception_fp_ieee_underflow 0
		.amdhsa_exception_fp_ieee_inexact 0
		.amdhsa_exception_int_div_zero 0
	.end_amdhsa_kernel
	.section	.text._ZN5aiter26unary_operator_tile_kernelIN3c108BFloat16ELi8ELi8ENS_9SigmoidOpEEEvPKvPviii,"axG",@progbits,_ZN5aiter26unary_operator_tile_kernelIN3c108BFloat16ELi8ELi8ENS_9SigmoidOpEEEvPKvPviii,comdat
.Lfunc_end3:
	.size	_ZN5aiter26unary_operator_tile_kernelIN3c108BFloat16ELi8ELi8ENS_9SigmoidOpEEEvPKvPviii, .Lfunc_end3-_ZN5aiter26unary_operator_tile_kernelIN3c108BFloat16ELi8ELi8ENS_9SigmoidOpEEEvPKvPviii
                                        ; -- End function
	.section	.AMDGPU.csdata,"",@progbits
; Kernel info:
; codeLenInByte = 2260
; NumSgprs: 22
; NumVgprs: 28
; NumAgprs: 0
; TotalNumVgprs: 28
; ScratchSize: 0
; MemoryBound: 0
; FloatMode: 240
; IeeeMode: 1
; LDSByteSize: 0 bytes/workgroup (compile time only)
; SGPRBlocks: 2
; VGPRBlocks: 3
; NumSGPRsForWavesPerEU: 22
; NumVGPRsForWavesPerEU: 28
; AccumOffset: 28
; Occupancy: 8
; WaveLimiterHint : 0
; COMPUTE_PGM_RSRC2:SCRATCH_EN: 0
; COMPUTE_PGM_RSRC2:USER_SGPR: 6
; COMPUTE_PGM_RSRC2:TRAP_HANDLER: 0
; COMPUTE_PGM_RSRC2:TGID_X_EN: 1
; COMPUTE_PGM_RSRC2:TGID_Y_EN: 0
; COMPUTE_PGM_RSRC2:TGID_Z_EN: 0
; COMPUTE_PGM_RSRC2:TIDIG_COMP_CNT: 0
; COMPUTE_PGM_RSRC3_GFX90A:ACCUM_OFFSET: 6
; COMPUTE_PGM_RSRC3_GFX90A:TG_SPLIT: 0
	.section	.text._ZN5aiter26unary_operator_tile_kernelIfLi8ELi8ENS_6TanhOpEEEvPKvPviii,"axG",@progbits,_ZN5aiter26unary_operator_tile_kernelIfLi8ELi8ENS_6TanhOpEEEvPKvPviii,comdat
	.protected	_ZN5aiter26unary_operator_tile_kernelIfLi8ELi8ENS_6TanhOpEEEvPKvPviii ; -- Begin function _ZN5aiter26unary_operator_tile_kernelIfLi8ELi8ENS_6TanhOpEEEvPKvPviii
	.globl	_ZN5aiter26unary_operator_tile_kernelIfLi8ELi8ENS_6TanhOpEEEvPKvPviii
	.p2align	8
	.type	_ZN5aiter26unary_operator_tile_kernelIfLi8ELi8ENS_6TanhOpEEEvPKvPviii,@function
_ZN5aiter26unary_operator_tile_kernelIfLi8ELi8ENS_6TanhOpEEEvPKvPviii: ; @_ZN5aiter26unary_operator_tile_kernelIfLi8ELi8ENS_6TanhOpEEEvPKvPviii
; %bb.0:
	s_load_dword s7, s[4:5], 0x2c
	s_load_dwordx4 s[0:3], s[4:5], 0x10
	v_mov_b32_e32 v2, 0
	v_mov_b32_e32 v1, v2
	;; [unrolled: 1-line block ×3, first 2 shown]
	s_waitcnt lgkmcnt(0)
	s_and_b32 s3, s7, 0xffff
	s_ashr_i32 s11, s1, 31
	v_mad_u64_u32 v[0:1], s[6:7], s3, v3, v[0:1]
	s_lshr_b32 s3, s11, 29
	s_add_i32 s3, s1, s3
	s_ashr_i32 s10, s3, 3
	s_ashr_i32 s3, s2, 31
	s_lshr_b32 s6, s3, 29
	s_add_i32 s6, s2, s6
	s_ashr_i32 s12, s6, 3
	s_ashr_i32 s6, s0, 31
	s_mul_i32 s6, s10, s6
	s_mul_hi_u32 s7, s10, s0
	s_add_i32 s6, s7, s6
	s_mul_i32 s0, s10, s0
	s_mul_hi_u32 s7, s0, s12
	s_mul_i32 s6, s6, s12
	s_add_i32 s7, s7, s6
	s_mul_i32 s6, s0, s12
	v_cmp_gt_u64_e32 vcc, s[6:7], v[0:1]
	s_and_saveexec_b64 s[6:7], vcc
	s_cbranch_execz .LBB4_262
; %bb.1:
	s_load_dwordx2 s[6:7], s[4:5], 0x0
	v_mov_b32_e32 v3, v1
	s_mul_i32 s0, s12, s10
	v_cmp_ne_u64_e32 vcc, 0, v[2:3]
                                        ; implicit-def: $vgpr2_vgpr3
	s_and_saveexec_b64 s[8:9], vcc
	s_xor_b64 s[8:9], exec, s[8:9]
	s_cbranch_execz .LBB4_3
; %bb.2:
	v_cvt_f32_u32_e32 v2, s0
	v_mov_b32_e32 v3, 0x4f800000
	s_sub_u32 s13, 0, s0
	s_subb_u32 s14, 0, 0
	v_mac_f32_e32 v2, 0, v3
	v_rcp_f32_e32 v2, v2
	v_mul_f32_e32 v2, 0x5f7ffffc, v2
	v_mul_f32_e32 v3, 0x2f800000, v2
	v_trunc_f32_e32 v3, v3
	v_madmk_f32 v2, v3, 0xcf800000, v2
	v_cvt_u32_f32_e32 v3, v3
	v_cvt_u32_f32_e32 v2, v2
	v_mul_lo_u32 v4, s13, v3
	v_mul_hi_u32 v6, s13, v2
	v_mul_lo_u32 v5, s14, v2
	v_add_u32_e32 v4, v6, v4
	v_mul_lo_u32 v7, s13, v2
	v_add_u32_e32 v4, v4, v5
	v_mul_hi_u32 v6, v2, v7
	v_mul_lo_u32 v8, v2, v4
	v_mul_hi_u32 v5, v2, v4
	v_add_co_u32_e32 v6, vcc, v6, v8
	v_addc_co_u32_e32 v5, vcc, 0, v5, vcc
	v_mul_hi_u32 v9, v3, v7
	v_mul_lo_u32 v7, v3, v7
	v_add_co_u32_e32 v6, vcc, v6, v7
	v_mul_hi_u32 v8, v3, v4
	v_addc_co_u32_e32 v5, vcc, v5, v9, vcc
	v_addc_co_u32_e32 v6, vcc, 0, v8, vcc
	v_mul_lo_u32 v4, v3, v4
	v_add_co_u32_e32 v4, vcc, v5, v4
	v_addc_co_u32_e32 v5, vcc, 0, v6, vcc
	v_add_co_u32_e32 v2, vcc, v2, v4
	v_addc_co_u32_e32 v3, vcc, v3, v5, vcc
	v_mul_lo_u32 v4, s13, v3
	v_mul_hi_u32 v5, s13, v2
	v_add_u32_e32 v4, v5, v4
	v_mul_lo_u32 v5, s14, v2
	v_add_u32_e32 v4, v4, v5
	v_mul_lo_u32 v6, s13, v2
	v_mul_hi_u32 v7, v3, v6
	v_mul_lo_u32 v8, v3, v6
	v_mul_lo_u32 v10, v2, v4
	v_mul_hi_u32 v6, v2, v6
	v_mul_hi_u32 v9, v2, v4
	v_add_co_u32_e32 v6, vcc, v6, v10
	v_addc_co_u32_e32 v9, vcc, 0, v9, vcc
	v_add_co_u32_e32 v6, vcc, v6, v8
	v_mul_hi_u32 v5, v3, v4
	v_addc_co_u32_e32 v6, vcc, v9, v7, vcc
	v_addc_co_u32_e32 v5, vcc, 0, v5, vcc
	v_mul_lo_u32 v4, v3, v4
	v_add_co_u32_e32 v4, vcc, v6, v4
	v_addc_co_u32_e32 v5, vcc, 0, v5, vcc
	v_add_co_u32_e32 v4, vcc, v2, v4
	v_addc_co_u32_e32 v5, vcc, v3, v5, vcc
	v_mad_u64_u32 v[2:3], s[14:15], v0, v5, 0
	v_mul_hi_u32 v6, v0, v4
	v_add_co_u32_e32 v6, vcc, v6, v2
	v_addc_co_u32_e32 v7, vcc, 0, v3, vcc
	v_mad_u64_u32 v[2:3], s[14:15], v1, v5, 0
	v_mad_u64_u32 v[4:5], s[14:15], v1, v4, 0
	v_add_co_u32_e32 v4, vcc, v6, v4
	v_addc_co_u32_e32 v4, vcc, v7, v5, vcc
	v_addc_co_u32_e32 v3, vcc, 0, v3, vcc
	v_add_co_u32_e32 v6, vcc, v4, v2
	v_addc_co_u32_e32 v5, vcc, 0, v3, vcc
	v_mad_u64_u32 v[2:3], s[14:15], s0, v6, 0
	v_mov_b32_e32 v4, v3
	v_mad_u64_u32 v[4:5], s[14:15], s0, v5, v[4:5]
	v_sub_co_u32_e32 v2, vcc, v0, v2
	v_subb_co_u32_e32 v1, vcc, v1, v4, vcc
	v_subrev_co_u32_e32 v3, vcc, s0, v2
	v_subbrev_co_u32_e32 v4, vcc, 0, v1, vcc
	v_cmp_le_u32_e32 vcc, s0, v3
	v_cndmask_b32_e64 v3, 0, -1, vcc
	v_cmp_eq_u32_e32 vcc, 0, v4
	v_cndmask_b32_e32 v3, -1, v3, vcc
	v_add_co_u32_e32 v4, vcc, 2, v6
	v_add_co_u32_e32 v5, vcc, 1, v6
	v_cmp_le_u32_e32 vcc, s0, v2
	v_cndmask_b32_e64 v2, 0, -1, vcc
	v_cmp_eq_u32_e32 vcc, 0, v1
	v_cndmask_b32_e32 v1, -1, v2, vcc
	v_cmp_ne_u32_e32 vcc, 0, v3
	v_cndmask_b32_e32 v2, v5, v4, vcc
	v_cmp_ne_u32_e32 vcc, 0, v1
	v_cndmask_b32_e32 v2, v6, v2, vcc
.LBB4_3:
	s_andn2_saveexec_b64 s[8:9], s[8:9]
	s_cbranch_execz .LBB4_5
; %bb.4:
	v_cvt_f32_u32_e32 v1, s0
	s_sub_i32 s13, 0, s0
	v_rcp_iflag_f32_e32 v1, v1
	v_mul_f32_e32 v1, 0x4f7ffffe, v1
	v_cvt_u32_f32_e32 v1, v1
	v_mul_lo_u32 v2, s13, v1
	v_mul_hi_u32 v2, v1, v2
	v_add_u32_e32 v1, v1, v2
	v_mul_hi_u32 v1, v0, v1
	v_mul_lo_u32 v2, v1, s0
	v_sub_u32_e32 v2, v0, v2
	v_add_u32_e32 v3, 1, v1
	v_subrev_u32_e32 v4, s0, v2
	v_cmp_le_u32_e32 vcc, s0, v2
	v_cndmask_b32_e32 v2, v2, v4, vcc
	v_cndmask_b32_e32 v1, v1, v3, vcc
	v_add_u32_e32 v3, 1, v1
	v_cmp_le_u32_e32 vcc, s0, v2
	v_cndmask_b32_e32 v2, v1, v3, vcc
.LBB4_5:
	s_or_b64 exec, exec, s[8:9]
	v_cvt_f32_u32_e32 v1, s12
	v_cvt_f32_u32_e32 v4, s10
	v_mul_lo_u32 v3, v2, s0
	s_sub_i32 s0, 0, s12
	v_rcp_iflag_f32_e32 v1, v1
	v_sub_u32_e32 v0, v0, v3
	v_rcp_iflag_f32_e32 v3, v4
	v_mul_lo_u32 v10, v2, s11
	v_mul_f32_e32 v1, 0x4f7ffffe, v1
	v_cvt_u32_f32_e32 v1, v1
	v_mul_f32_e32 v3, 0x4f7ffffe, v3
	v_cvt_u32_f32_e32 v3, v3
	s_load_dwordx2 s[4:5], s[4:5], 0x8
	v_mul_lo_u32 v4, s0, v1
	v_mul_hi_u32 v4, v1, v4
	v_add_u32_e32 v1, v1, v4
	v_mul_hi_u32 v1, v0, v1
	v_mul_lo_u32 v4, v1, s12
	v_sub_u32_e32 v4, v0, v4
	v_add_u32_e32 v5, 1, v1
	v_cmp_le_u32_e32 vcc, s12, v4
	v_cndmask_b32_e32 v1, v1, v5, vcc
	v_subrev_u32_e32 v5, s12, v4
	v_cndmask_b32_e32 v4, v4, v5, vcc
	s_sub_i32 s0, 0, s10
	v_cmp_le_u32_e32 vcc, s12, v4
	v_mul_lo_u32 v4, s0, v3
	v_add_u32_e32 v5, 1, v1
	v_mul_hi_u32 v4, v3, v4
	v_cndmask_b32_e32 v1, v1, v5, vcc
	v_add_u32_e32 v3, v3, v4
	v_mul_hi_u32 v3, v1, v3
	v_mul_lo_u32 v3, v3, s10
	v_sub_u32_e32 v3, v1, v3
	v_subrev_u32_e32 v4, s10, v3
	v_cmp_le_u32_e32 vcc, s10, v3
	v_cndmask_b32_e32 v3, v3, v4, vcc
	v_mul_lo_u32 v1, v1, s12
	v_subrev_u32_e32 v4, s10, v3
	v_cmp_le_u32_e32 vcc, s10, v3
	v_sub_u32_e32 v0, v0, v1
	v_mov_b32_e32 v1, 0
	v_cndmask_b32_e32 v4, v3, v4, vcc
	v_mov_b32_e32 v5, v1
	v_mad_u64_u32 v[6:7], s[8:9], v2, s1, v[4:5]
	v_lshlrev_b32_e32 v0, 3, v0
	v_add_u32_e32 v3, v10, v7
	v_mul_lo_u32 v5, v6, s3
	v_mul_lo_u32 v3, v3, s2
	v_mad_u64_u32 v[6:7], s[8:9], v6, s2, v[0:1]
	v_add3_u32 v7, v3, v7, v5
	v_lshlrev_b64 v[6:7], 2, v[6:7]
	s_waitcnt lgkmcnt(0)
	v_mov_b32_e32 v3, s7
	v_add_co_u32_e32 v8, vcc, s6, v6
	v_addc_co_u32_e32 v9, vcc, v3, v7, vcc
	global_load_dword v3, v[8:9], off
	s_mov_b32 s0, 0x3f200000
                                        ; implicit-def: $vgpr11
	s_waitcnt vmcnt(0)
	v_cmp_nlt_f32_e64 s[8:9], |v3|, s0
	s_and_saveexec_b64 s[12:13], s[8:9]
	s_xor_b64 s[8:9], exec, s[12:13]
	s_cbranch_execz .LBB4_7
; %bb.6:
	v_add_f32_e64 v5, |v3|, |v3|
	v_mul_f32_e32 v11, 0x3fb8aa3b, v5
	s_mov_b32 s0, 0x3fb8aa3b
	v_rndne_f32_e32 v12, v11
	v_sub_f32_e32 v13, v11, v12
	v_fma_f32 v11, v5, s0, -v11
	v_fmac_f32_e32 v11, 0x32a5705f, v5
	v_add_f32_e32 v11, v13, v11
	v_exp_f32_e32 v11, v11
	v_cvt_i32_f32_e32 v12, v12
	s_mov_b32 s0, 0xc2ce8ed0
	v_cmp_ngt_f32_e32 vcc, s0, v5
	s_mov_b32 s0, 0x42b17218
	v_ldexp_f32 v11, v11, v12
	v_cndmask_b32_e32 v11, 0, v11, vcc
	v_mov_b32_e32 v12, 0x7f800000
	v_cmp_nlt_f32_e32 vcc, s0, v5
	v_cndmask_b32_e32 v5, v12, v11, vcc
	v_add_f32_e32 v5, 1.0, v5
	v_rcp_f32_e32 v5, v5
	v_fma_f32 v11, v5, -2.0, 1.0
.LBB4_7:
	s_andn2_saveexec_b64 s[8:9], s[8:9]
; %bb.8:
	v_mul_f32_e32 v5, v3, v3
	v_mov_b32_e32 v11, 0x3ca908c9
	v_fmac_f32_e32 v11, 0xbbbac73d, v5
	v_mov_b32_e32 v12, 0xbd5c1c4e
	v_fmac_f32_e32 v12, v5, v11
	;; [unrolled: 2-line block ×4, first 2 shown]
	v_mul_f32_e64 v11, |v3|, v12
	v_fma_f32 v11, v5, v11, |v3|
; %bb.9:
	s_or_b64 exec, exec, s[8:9]
	global_load_dword v5, v[8:9], off offset:4
	s_brev_b32 s0, -2
	v_mov_b32_e32 v12, s5
	v_add_co_u32_e32 v6, vcc, s4, v6
	v_bfi_b32 v3, s0, v11, v3
	s_mov_b32 s0, 0x3f200000
	v_addc_co_u32_e32 v7, vcc, v12, v7, vcc
	global_store_dword v[6:7], v3, off
                                        ; implicit-def: $vgpr11
	s_waitcnt vmcnt(1)
	v_cmp_nlt_f32_e64 s[8:9], |v5|, s0
	s_and_saveexec_b64 s[12:13], s[8:9]
	s_xor_b64 s[8:9], exec, s[12:13]
	s_cbranch_execz .LBB4_11
; %bb.10:
	v_add_f32_e64 v3, |v5|, |v5|
	v_mul_f32_e32 v11, 0x3fb8aa3b, v3
	s_mov_b32 s0, 0x3fb8aa3b
	v_rndne_f32_e32 v12, v11
	v_sub_f32_e32 v13, v11, v12
	v_fma_f32 v11, v3, s0, -v11
	v_fmac_f32_e32 v11, 0x32a5705f, v3
	v_add_f32_e32 v11, v13, v11
	v_exp_f32_e32 v11, v11
	v_cvt_i32_f32_e32 v12, v12
	s_mov_b32 s0, 0xc2ce8ed0
	v_cmp_ngt_f32_e32 vcc, s0, v3
	s_mov_b32 s0, 0x42b17218
	v_ldexp_f32 v11, v11, v12
	v_cndmask_b32_e32 v11, 0, v11, vcc
	v_mov_b32_e32 v12, 0x7f800000
	v_cmp_nlt_f32_e32 vcc, s0, v3
	v_cndmask_b32_e32 v3, v12, v11, vcc
	v_add_f32_e32 v3, 1.0, v3
	v_rcp_f32_e32 v3, v3
	v_fma_f32 v11, v3, -2.0, 1.0
.LBB4_11:
	s_andn2_saveexec_b64 s[8:9], s[8:9]
; %bb.12:
	v_mul_f32_e32 v3, v5, v5
	v_mov_b32_e32 v11, 0x3ca908c9
	v_fmac_f32_e32 v11, 0xbbbac73d, v3
	v_mov_b32_e32 v12, 0xbd5c1c4e
	v_fmac_f32_e32 v12, v3, v11
	v_mov_b32_e32 v11, 0x3e088382
	v_fmac_f32_e32 v11, v3, v12
	v_mov_b32_e32 v12, 0xbeaaaa99
	v_fmac_f32_e32 v12, v3, v11
	v_mul_f32_e64 v11, |v5|, v12
	v_fma_f32 v11, v3, v11, |v5|
; %bb.13:
	s_or_b64 exec, exec, s[8:9]
	global_load_dword v3, v[8:9], off offset:8
	s_brev_b32 s0, -2
	v_bfi_b32 v5, s0, v11, v5
	s_mov_b32 s0, 0x3f200000
	global_store_dword v[6:7], v5, off offset:4
                                        ; implicit-def: $vgpr11
	s_waitcnt vmcnt(1)
	v_cmp_nlt_f32_e64 s[8:9], |v3|, s0
	s_and_saveexec_b64 s[12:13], s[8:9]
	s_xor_b64 s[8:9], exec, s[12:13]
	s_cbranch_execz .LBB4_15
; %bb.14:
	v_add_f32_e64 v5, |v3|, |v3|
	v_mul_f32_e32 v11, 0x3fb8aa3b, v5
	s_mov_b32 s0, 0x3fb8aa3b
	v_rndne_f32_e32 v12, v11
	v_sub_f32_e32 v13, v11, v12
	v_fma_f32 v11, v5, s0, -v11
	v_fmac_f32_e32 v11, 0x32a5705f, v5
	v_add_f32_e32 v11, v13, v11
	v_exp_f32_e32 v11, v11
	v_cvt_i32_f32_e32 v12, v12
	s_mov_b32 s0, 0xc2ce8ed0
	v_cmp_ngt_f32_e32 vcc, s0, v5
	s_mov_b32 s0, 0x42b17218
	v_ldexp_f32 v11, v11, v12
	v_cndmask_b32_e32 v11, 0, v11, vcc
	v_mov_b32_e32 v12, 0x7f800000
	v_cmp_nlt_f32_e32 vcc, s0, v5
	v_cndmask_b32_e32 v5, v12, v11, vcc
	v_add_f32_e32 v5, 1.0, v5
	v_rcp_f32_e32 v5, v5
	v_fma_f32 v11, v5, -2.0, 1.0
.LBB4_15:
	s_andn2_saveexec_b64 s[8:9], s[8:9]
; %bb.16:
	v_mul_f32_e32 v5, v3, v3
	v_mov_b32_e32 v11, 0x3ca908c9
	v_fmac_f32_e32 v11, 0xbbbac73d, v5
	v_mov_b32_e32 v12, 0xbd5c1c4e
	v_fmac_f32_e32 v12, v5, v11
	v_mov_b32_e32 v11, 0x3e088382
	v_fmac_f32_e32 v11, v5, v12
	v_mov_b32_e32 v12, 0xbeaaaa99
	v_fmac_f32_e32 v12, v5, v11
	v_mul_f32_e64 v11, |v3|, v12
	v_fma_f32 v11, v5, v11, |v3|
; %bb.17:
	s_or_b64 exec, exec, s[8:9]
	global_load_dword v5, v[8:9], off offset:12
	s_brev_b32 s0, -2
	v_bfi_b32 v3, s0, v11, v3
	s_mov_b32 s0, 0x3f200000
	global_store_dword v[6:7], v3, off offset:8
	;; [unrolled: 49-line block ×3, first 2 shown]
                                        ; implicit-def: $vgpr5
	s_waitcnt vmcnt(1)
	v_cmp_nlt_f32_e64 s[8:9], |v3|, s0
	s_and_saveexec_b64 s[12:13], s[8:9]
	s_xor_b64 s[8:9], exec, s[12:13]
	s_cbranch_execz .LBB4_23
; %bb.22:
	v_add_f32_e64 v5, |v3|, |v3|
	v_mul_f32_e32 v11, 0x3fb8aa3b, v5
	s_mov_b32 s0, 0x3fb8aa3b
	v_rndne_f32_e32 v12, v11
	v_sub_f32_e32 v13, v11, v12
	v_fma_f32 v11, v5, s0, -v11
	v_fmac_f32_e32 v11, 0x32a5705f, v5
	v_add_f32_e32 v11, v13, v11
	v_exp_f32_e32 v11, v11
	v_cvt_i32_f32_e32 v12, v12
	s_mov_b32 s0, 0xc2ce8ed0
	v_cmp_ngt_f32_e32 vcc, s0, v5
	s_mov_b32 s0, 0x42b17218
	v_ldexp_f32 v11, v11, v12
	v_cndmask_b32_e32 v11, 0, v11, vcc
	v_mov_b32_e32 v12, 0x7f800000
	v_cmp_nlt_f32_e32 vcc, s0, v5
	v_cndmask_b32_e32 v5, v12, v11, vcc
	v_add_f32_e32 v5, 1.0, v5
	v_rcp_f32_e32 v5, v5
	v_fma_f32 v5, v5, -2.0, 1.0
.LBB4_23:
	s_andn2_saveexec_b64 s[8:9], s[8:9]
; %bb.24:
	v_mul_f32_e32 v5, v3, v3
	v_mov_b32_e32 v11, 0x3ca908c9
	v_fmac_f32_e32 v11, 0xbbbac73d, v5
	v_mov_b32_e32 v12, 0xbd5c1c4e
	v_fmac_f32_e32 v12, v5, v11
	;; [unrolled: 2-line block ×4, first 2 shown]
	v_mul_f32_e64 v11, |v3|, v12
	v_fma_f32 v5, v5, v11, |v3|
; %bb.25:
	s_or_b64 exec, exec, s[8:9]
	global_load_dword v11, v[8:9], off offset:20
	s_brev_b32 s0, -2
	v_bfi_b32 v3, s0, v5, v3
	s_mov_b32 s0, 0x3f200000
	global_store_dword v[6:7], v3, off offset:16
                                        ; implicit-def: $vgpr12
	s_waitcnt vmcnt(1)
	v_cmp_nlt_f32_e64 s[8:9], |v11|, s0
	s_and_saveexec_b64 s[12:13], s[8:9]
	s_xor_b64 s[8:9], exec, s[12:13]
	s_cbranch_execz .LBB4_27
; %bb.26:
	v_add_f32_e64 v3, |v11|, |v11|
	v_mul_f32_e32 v5, 0x3fb8aa3b, v3
	s_mov_b32 s0, 0x3fb8aa3b
	v_rndne_f32_e32 v12, v5
	v_sub_f32_e32 v13, v5, v12
	v_fma_f32 v5, v3, s0, -v5
	v_fmac_f32_e32 v5, 0x32a5705f, v3
	v_add_f32_e32 v5, v13, v5
	v_exp_f32_e32 v5, v5
	v_cvt_i32_f32_e32 v12, v12
	s_mov_b32 s0, 0xc2ce8ed0
	v_cmp_ngt_f32_e32 vcc, s0, v3
	s_mov_b32 s0, 0x42b17218
	v_ldexp_f32 v5, v5, v12
	v_cndmask_b32_e32 v5, 0, v5, vcc
	v_mov_b32_e32 v12, 0x7f800000
	v_cmp_nlt_f32_e32 vcc, s0, v3
	v_cndmask_b32_e32 v3, v12, v5, vcc
	v_add_f32_e32 v3, 1.0, v3
	v_rcp_f32_e32 v3, v3
	v_fma_f32 v12, v3, -2.0, 1.0
.LBB4_27:
	s_andn2_saveexec_b64 s[8:9], s[8:9]
; %bb.28:
	v_mul_f32_e32 v3, v11, v11
	v_mov_b32_e32 v5, 0x3ca908c9
	v_fmac_f32_e32 v5, 0xbbbac73d, v3
	v_mov_b32_e32 v12, 0xbd5c1c4e
	v_fmac_f32_e32 v12, v3, v5
	;; [unrolled: 2-line block ×4, first 2 shown]
	v_mul_f32_e64 v5, |v11|, v12
	v_fma_f32 v12, v3, v5, |v11|
; %bb.29:
	s_or_b64 exec, exec, s[8:9]
	global_load_dword v5, v[8:9], off offset:24
	v_mad_u64_u32 v[2:3], s[0:1], v2, s1, 0
	s_brev_b32 s0, -2
	v_bfi_b32 v11, s0, v12, v11
	s_mov_b32 s0, 0x3f200000
	global_store_dword v[6:7], v11, off offset:20
                                        ; implicit-def: $vgpr12
	s_waitcnt vmcnt(1)
	v_cmp_nlt_f32_e64 s[0:1], |v5|, s0
	s_and_saveexec_b64 s[8:9], s[0:1]
	s_xor_b64 s[0:1], exec, s[8:9]
	s_cbranch_execz .LBB4_31
; %bb.30:
	v_add_f32_e64 v11, |v5|, |v5|
	v_mul_f32_e32 v12, 0x3fb8aa3b, v11
	s_mov_b32 s8, 0x3fb8aa3b
	v_rndne_f32_e32 v13, v12
	v_sub_f32_e32 v14, v12, v13
	v_fma_f32 v12, v11, s8, -v12
	v_fmac_f32_e32 v12, 0x32a5705f, v11
	v_add_f32_e32 v12, v14, v12
	v_exp_f32_e32 v12, v12
	v_cvt_i32_f32_e32 v13, v13
	s_mov_b32 s8, 0xc2ce8ed0
	v_cmp_ngt_f32_e32 vcc, s8, v11
	s_mov_b32 s8, 0x42b17218
	v_ldexp_f32 v12, v12, v13
	v_cndmask_b32_e32 v12, 0, v12, vcc
	v_mov_b32_e32 v13, 0x7f800000
	v_cmp_nlt_f32_e32 vcc, s8, v11
	v_cndmask_b32_e32 v11, v13, v12, vcc
	v_add_f32_e32 v11, 1.0, v11
	v_rcp_f32_e32 v11, v11
	v_fma_f32 v12, v11, -2.0, 1.0
.LBB4_31:
	s_andn2_saveexec_b64 s[0:1], s[0:1]
; %bb.32:
	v_mul_f32_e32 v11, v5, v5
	v_mov_b32_e32 v12, 0x3ca908c9
	v_fmac_f32_e32 v12, 0xbbbac73d, v11
	v_mov_b32_e32 v13, 0xbd5c1c4e
	v_fmac_f32_e32 v13, v11, v12
	;; [unrolled: 2-line block ×4, first 2 shown]
	v_mul_f32_e64 v12, |v5|, v13
	v_fma_f32 v12, v11, v12, |v5|
; %bb.33:
	s_or_b64 exec, exec, s[0:1]
	global_load_dword v11, v[8:9], off offset:28
	s_brev_b32 s0, -2
	v_bfi_b32 v5, s0, v12, v5
	s_mov_b32 s0, 0x3f200000
	v_add_u32_e32 v3, v3, v10
	global_store_dword v[6:7], v5, off offset:24
                                        ; implicit-def: $vgpr13
	s_waitcnt vmcnt(1)
	v_cmp_nlt_f32_e64 s[0:1], |v11|, s0
	s_and_saveexec_b64 s[8:9], s[0:1]
	s_xor_b64 s[0:1], exec, s[8:9]
	s_cbranch_execz .LBB4_35
; %bb.34:
	v_add_f32_e64 v5, |v11|, |v11|
	v_mul_f32_e32 v8, 0x3fb8aa3b, v5
	s_mov_b32 s8, 0x3fb8aa3b
	v_rndne_f32_e32 v9, v8
	v_sub_f32_e32 v10, v8, v9
	v_fma_f32 v8, v5, s8, -v8
	v_fmac_f32_e32 v8, 0x32a5705f, v5
	v_add_f32_e32 v8, v10, v8
	v_exp_f32_e32 v8, v8
	v_cvt_i32_f32_e32 v9, v9
	s_mov_b32 s8, 0xc2ce8ed0
	v_cmp_ngt_f32_e32 vcc, s8, v5
	s_mov_b32 s8, 0x42b17218
	v_ldexp_f32 v8, v8, v9
	v_cndmask_b32_e32 v8, 0, v8, vcc
	v_mov_b32_e32 v9, 0x7f800000
	v_cmp_nlt_f32_e32 vcc, s8, v5
	v_cndmask_b32_e32 v5, v9, v8, vcc
	v_add_f32_e32 v5, 1.0, v5
	v_rcp_f32_e32 v5, v5
	v_fma_f32 v13, v5, -2.0, 1.0
.LBB4_35:
	s_andn2_saveexec_b64 s[0:1], s[0:1]
; %bb.36:
	v_mul_f32_e32 v5, v11, v11
	v_mov_b32_e32 v8, 0x3ca908c9
	v_fmac_f32_e32 v8, 0xbbbac73d, v5
	v_mov_b32_e32 v9, 0xbd5c1c4e
	v_fmac_f32_e32 v9, v5, v8
	;; [unrolled: 2-line block ×4, first 2 shown]
	v_mul_f32_e64 v8, |v11|, v9
	v_fma_f32 v13, v5, v8, |v11|
; %bb.37:
	s_or_b64 exec, exec, s[0:1]
	v_add_u32_e32 v10, s10, v4
	v_add_co_u32_e32 v4, vcc, v2, v10
	v_addc_co_u32_e32 v5, vcc, 0, v3, vcc
	v_mul_lo_u32 v8, v4, s3
	v_mul_lo_u32 v9, v5, s2
	v_mad_u64_u32 v[4:5], s[0:1], v4, s2, v[0:1]
	v_add3_u32 v5, v9, v5, v8
	v_lshlrev_b64 v[4:5], 2, v[4:5]
	v_mov_b32_e32 v9, s7
	v_add_co_u32_e32 v8, vcc, s6, v4
	v_addc_co_u32_e32 v9, vcc, v9, v5, vcc
	global_load_dword v12, v[8:9], off
	s_brev_b32 s0, -2
	v_bfi_b32 v11, s0, v13, v11
	s_mov_b32 s0, 0x3f200000
	global_store_dword v[6:7], v11, off offset:28
                                        ; implicit-def: $vgpr7
	s_waitcnt vmcnt(1)
	v_cmp_nlt_f32_e64 s[0:1], |v12|, s0
	s_and_saveexec_b64 s[8:9], s[0:1]
	s_xor_b64 s[0:1], exec, s[8:9]
	s_cbranch_execz .LBB4_39
; %bb.38:
	v_add_f32_e64 v6, |v12|, |v12|
	v_mul_f32_e32 v7, 0x3fb8aa3b, v6
	s_mov_b32 s8, 0x3fb8aa3b
	v_rndne_f32_e32 v11, v7
	v_sub_f32_e32 v13, v7, v11
	v_fma_f32 v7, v6, s8, -v7
	v_fmac_f32_e32 v7, 0x32a5705f, v6
	v_add_f32_e32 v7, v13, v7
	v_exp_f32_e32 v7, v7
	v_cvt_i32_f32_e32 v11, v11
	s_mov_b32 s8, 0xc2ce8ed0
	v_cmp_ngt_f32_e32 vcc, s8, v6
	s_mov_b32 s8, 0x42b17218
	v_ldexp_f32 v7, v7, v11
	v_cndmask_b32_e32 v7, 0, v7, vcc
	v_mov_b32_e32 v11, 0x7f800000
	v_cmp_nlt_f32_e32 vcc, s8, v6
	v_cndmask_b32_e32 v6, v11, v7, vcc
	v_add_f32_e32 v6, 1.0, v6
	v_rcp_f32_e32 v6, v6
	v_fma_f32 v7, v6, -2.0, 1.0
.LBB4_39:
	s_andn2_saveexec_b64 s[0:1], s[0:1]
; %bb.40:
	v_mul_f32_e32 v6, v12, v12
	v_mov_b32_e32 v7, 0x3ca908c9
	v_fmac_f32_e32 v7, 0xbbbac73d, v6
	v_mov_b32_e32 v11, 0xbd5c1c4e
	v_fmac_f32_e32 v11, v6, v7
	;; [unrolled: 2-line block ×4, first 2 shown]
	v_mul_f32_e64 v7, |v12|, v11
	v_fma_f32 v7, v6, v7, |v12|
; %bb.41:
	s_or_b64 exec, exec, s[0:1]
	global_load_dword v6, v[8:9], off offset:4
	s_brev_b32 s0, -2
	v_mov_b32_e32 v11, s5
	v_add_co_u32_e32 v4, vcc, s4, v4
	v_bfi_b32 v7, s0, v7, v12
	s_mov_b32 s0, 0x3f200000
	v_addc_co_u32_e32 v5, vcc, v11, v5, vcc
	global_store_dword v[4:5], v7, off
                                        ; implicit-def: $vgpr11
	s_waitcnt vmcnt(1)
	v_cmp_nlt_f32_e64 s[0:1], |v6|, s0
	s_and_saveexec_b64 s[8:9], s[0:1]
	s_xor_b64 s[0:1], exec, s[8:9]
	s_cbranch_execz .LBB4_43
; %bb.42:
	v_add_f32_e64 v7, |v6|, |v6|
	v_mul_f32_e32 v11, 0x3fb8aa3b, v7
	s_mov_b32 s8, 0x3fb8aa3b
	v_rndne_f32_e32 v12, v11
	v_sub_f32_e32 v13, v11, v12
	v_fma_f32 v11, v7, s8, -v11
	v_fmac_f32_e32 v11, 0x32a5705f, v7
	v_add_f32_e32 v11, v13, v11
	v_exp_f32_e32 v11, v11
	v_cvt_i32_f32_e32 v12, v12
	s_mov_b32 s8, 0xc2ce8ed0
	v_cmp_ngt_f32_e32 vcc, s8, v7
	s_mov_b32 s8, 0x42b17218
	v_ldexp_f32 v11, v11, v12
	v_cndmask_b32_e32 v11, 0, v11, vcc
	v_mov_b32_e32 v12, 0x7f800000
	v_cmp_nlt_f32_e32 vcc, s8, v7
	v_cndmask_b32_e32 v7, v12, v11, vcc
	v_add_f32_e32 v7, 1.0, v7
	v_rcp_f32_e32 v7, v7
	v_fma_f32 v11, v7, -2.0, 1.0
.LBB4_43:
	s_andn2_saveexec_b64 s[0:1], s[0:1]
; %bb.44:
	v_mul_f32_e32 v7, v6, v6
	v_mov_b32_e32 v11, 0x3ca908c9
	v_fmac_f32_e32 v11, 0xbbbac73d, v7
	v_mov_b32_e32 v12, 0xbd5c1c4e
	v_fmac_f32_e32 v12, v7, v11
	v_mov_b32_e32 v11, 0x3e088382
	v_fmac_f32_e32 v11, v7, v12
	v_mov_b32_e32 v12, 0xbeaaaa99
	v_fmac_f32_e32 v12, v7, v11
	v_mul_f32_e64 v11, |v6|, v12
	v_fma_f32 v11, v7, v11, |v6|
; %bb.45:
	s_or_b64 exec, exec, s[0:1]
	global_load_dword v7, v[8:9], off offset:8
	s_brev_b32 s0, -2
	v_bfi_b32 v6, s0, v11, v6
	s_mov_b32 s0, 0x3f200000
	global_store_dword v[4:5], v6, off offset:4
                                        ; implicit-def: $vgpr11
	s_waitcnt vmcnt(1)
	v_cmp_nlt_f32_e64 s[0:1], |v7|, s0
	s_and_saveexec_b64 s[8:9], s[0:1]
	s_xor_b64 s[0:1], exec, s[8:9]
	s_cbranch_execz .LBB4_47
; %bb.46:
	v_add_f32_e64 v6, |v7|, |v7|
	v_mul_f32_e32 v11, 0x3fb8aa3b, v6
	s_mov_b32 s8, 0x3fb8aa3b
	v_rndne_f32_e32 v12, v11
	v_sub_f32_e32 v13, v11, v12
	v_fma_f32 v11, v6, s8, -v11
	v_fmac_f32_e32 v11, 0x32a5705f, v6
	v_add_f32_e32 v11, v13, v11
	v_exp_f32_e32 v11, v11
	v_cvt_i32_f32_e32 v12, v12
	s_mov_b32 s8, 0xc2ce8ed0
	v_cmp_ngt_f32_e32 vcc, s8, v6
	s_mov_b32 s8, 0x42b17218
	v_ldexp_f32 v11, v11, v12
	v_cndmask_b32_e32 v11, 0, v11, vcc
	v_mov_b32_e32 v12, 0x7f800000
	v_cmp_nlt_f32_e32 vcc, s8, v6
	v_cndmask_b32_e32 v6, v12, v11, vcc
	v_add_f32_e32 v6, 1.0, v6
	v_rcp_f32_e32 v6, v6
	v_fma_f32 v11, v6, -2.0, 1.0
.LBB4_47:
	s_andn2_saveexec_b64 s[0:1], s[0:1]
; %bb.48:
	v_mul_f32_e32 v6, v7, v7
	v_mov_b32_e32 v11, 0x3ca908c9
	v_fmac_f32_e32 v11, 0xbbbac73d, v6
	v_mov_b32_e32 v12, 0xbd5c1c4e
	v_fmac_f32_e32 v12, v6, v11
	v_mov_b32_e32 v11, 0x3e088382
	v_fmac_f32_e32 v11, v6, v12
	v_mov_b32_e32 v12, 0xbeaaaa99
	v_fmac_f32_e32 v12, v6, v11
	v_mul_f32_e64 v11, |v7|, v12
	v_fma_f32 v11, v6, v11, |v7|
; %bb.49:
	s_or_b64 exec, exec, s[0:1]
	global_load_dword v6, v[8:9], off offset:12
	s_brev_b32 s0, -2
	v_bfi_b32 v7, s0, v11, v7
	s_mov_b32 s0, 0x3f200000
	global_store_dword v[4:5], v7, off offset:8
	;; [unrolled: 49-line block ×5, first 2 shown]
                                        ; implicit-def: $vgpr6
	s_waitcnt vmcnt(1)
	v_cmp_nlt_f32_e64 s[0:1], |v7|, s0
	s_and_saveexec_b64 s[8:9], s[0:1]
	s_xor_b64 s[0:1], exec, s[8:9]
	s_cbranch_execz .LBB4_63
; %bb.62:
	v_add_f32_e64 v6, |v7|, |v7|
	v_mul_f32_e32 v11, 0x3fb8aa3b, v6
	s_mov_b32 s8, 0x3fb8aa3b
	v_rndne_f32_e32 v12, v11
	v_sub_f32_e32 v13, v11, v12
	v_fma_f32 v11, v6, s8, -v11
	v_fmac_f32_e32 v11, 0x32a5705f, v6
	v_add_f32_e32 v11, v13, v11
	v_exp_f32_e32 v11, v11
	v_cvt_i32_f32_e32 v12, v12
	s_mov_b32 s8, 0xc2ce8ed0
	v_cmp_ngt_f32_e32 vcc, s8, v6
	s_mov_b32 s8, 0x42b17218
	v_ldexp_f32 v11, v11, v12
	v_cndmask_b32_e32 v11, 0, v11, vcc
	v_mov_b32_e32 v12, 0x7f800000
	v_cmp_nlt_f32_e32 vcc, s8, v6
	v_cndmask_b32_e32 v6, v12, v11, vcc
	v_add_f32_e32 v6, 1.0, v6
	v_rcp_f32_e32 v6, v6
	v_fma_f32 v6, v6, -2.0, 1.0
.LBB4_63:
	s_andn2_saveexec_b64 s[0:1], s[0:1]
; %bb.64:
	v_mul_f32_e32 v6, v7, v7
	v_mov_b32_e32 v11, 0x3ca908c9
	v_fmac_f32_e32 v11, 0xbbbac73d, v6
	v_mov_b32_e32 v12, 0xbd5c1c4e
	v_fmac_f32_e32 v12, v6, v11
	;; [unrolled: 2-line block ×4, first 2 shown]
	v_mul_f32_e64 v11, |v7|, v12
	v_fma_f32 v6, v6, v11, |v7|
; %bb.65:
	s_or_b64 exec, exec, s[0:1]
	global_load_dword v11, v[8:9], off offset:28
	s_brev_b32 s0, -2
	v_bfi_b32 v6, s0, v6, v7
	s_mov_b32 s0, 0x3f200000
	global_store_dword v[4:5], v6, off offset:24
                                        ; implicit-def: $vgpr13
	s_waitcnt vmcnt(1)
	v_cmp_nlt_f32_e64 s[0:1], |v11|, s0
	s_and_saveexec_b64 s[8:9], s[0:1]
	s_xor_b64 s[0:1], exec, s[8:9]
	s_cbranch_execz .LBB4_67
; %bb.66:
	v_add_f32_e64 v6, |v11|, |v11|
	v_mul_f32_e32 v7, 0x3fb8aa3b, v6
	s_mov_b32 s8, 0x3fb8aa3b
	v_rndne_f32_e32 v8, v7
	v_sub_f32_e32 v9, v7, v8
	v_fma_f32 v7, v6, s8, -v7
	v_fmac_f32_e32 v7, 0x32a5705f, v6
	v_add_f32_e32 v7, v9, v7
	v_exp_f32_e32 v7, v7
	v_cvt_i32_f32_e32 v8, v8
	s_mov_b32 s8, 0xc2ce8ed0
	v_cmp_ngt_f32_e32 vcc, s8, v6
	s_mov_b32 s8, 0x42b17218
	v_ldexp_f32 v7, v7, v8
	v_cndmask_b32_e32 v7, 0, v7, vcc
	v_mov_b32_e32 v8, 0x7f800000
	v_cmp_nlt_f32_e32 vcc, s8, v6
	v_cndmask_b32_e32 v6, v8, v7, vcc
	v_add_f32_e32 v6, 1.0, v6
	v_rcp_f32_e32 v6, v6
	v_fma_f32 v13, v6, -2.0, 1.0
.LBB4_67:
	s_andn2_saveexec_b64 s[0:1], s[0:1]
; %bb.68:
	v_mul_f32_e32 v6, v11, v11
	v_mov_b32_e32 v7, 0x3ca908c9
	v_fmac_f32_e32 v7, 0xbbbac73d, v6
	v_mov_b32_e32 v8, 0xbd5c1c4e
	v_fmac_f32_e32 v8, v6, v7
	;; [unrolled: 2-line block ×4, first 2 shown]
	v_mul_f32_e64 v7, |v11|, v8
	v_fma_f32 v13, v6, v7, |v11|
; %bb.69:
	s_or_b64 exec, exec, s[0:1]
	v_add_u32_e32 v10, s10, v10
	v_add_co_u32_e32 v6, vcc, v2, v10
	v_addc_co_u32_e32 v7, vcc, 0, v3, vcc
	v_mul_lo_u32 v8, v6, s3
	v_mul_lo_u32 v9, v7, s2
	v_mad_u64_u32 v[6:7], s[0:1], v6, s2, v[0:1]
	v_add3_u32 v7, v9, v7, v8
	v_lshlrev_b64 v[8:9], 2, v[6:7]
	v_mov_b32_e32 v7, s7
	v_add_co_u32_e32 v6, vcc, s6, v8
	v_addc_co_u32_e32 v7, vcc, v7, v9, vcc
	global_load_dword v12, v[6:7], off
	s_brev_b32 s0, -2
	v_bfi_b32 v11, s0, v13, v11
	s_mov_b32 s0, 0x3f200000
	global_store_dword v[4:5], v11, off offset:28
                                        ; implicit-def: $vgpr13
	s_waitcnt vmcnt(1)
	v_cmp_nlt_f32_e64 s[0:1], |v12|, s0
	s_and_saveexec_b64 s[8:9], s[0:1]
	s_xor_b64 s[0:1], exec, s[8:9]
	s_cbranch_execz .LBB4_71
; %bb.70:
	v_add_f32_e64 v4, |v12|, |v12|
	v_mul_f32_e32 v5, 0x3fb8aa3b, v4
	s_mov_b32 s8, 0x3fb8aa3b
	v_rndne_f32_e32 v11, v5
	v_sub_f32_e32 v13, v5, v11
	v_fma_f32 v5, v4, s8, -v5
	v_fmac_f32_e32 v5, 0x32a5705f, v4
	v_add_f32_e32 v5, v13, v5
	v_exp_f32_e32 v5, v5
	v_cvt_i32_f32_e32 v11, v11
	s_mov_b32 s8, 0xc2ce8ed0
	v_cmp_ngt_f32_e32 vcc, s8, v4
	s_mov_b32 s8, 0x42b17218
	v_ldexp_f32 v5, v5, v11
	v_cndmask_b32_e32 v5, 0, v5, vcc
	v_mov_b32_e32 v11, 0x7f800000
	v_cmp_nlt_f32_e32 vcc, s8, v4
	v_cndmask_b32_e32 v4, v11, v5, vcc
	v_add_f32_e32 v4, 1.0, v4
	v_rcp_f32_e32 v4, v4
	v_fma_f32 v13, v4, -2.0, 1.0
.LBB4_71:
	s_andn2_saveexec_b64 s[0:1], s[0:1]
; %bb.72:
	v_mul_f32_e32 v4, v12, v12
	v_mov_b32_e32 v5, 0x3ca908c9
	v_fmac_f32_e32 v5, 0xbbbac73d, v4
	v_mov_b32_e32 v11, 0xbd5c1c4e
	v_fmac_f32_e32 v11, v4, v5
	;; [unrolled: 2-line block ×4, first 2 shown]
	v_mul_f32_e64 v5, |v12|, v11
	v_fma_f32 v13, v4, v5, |v12|
; %bb.73:
	s_or_b64 exec, exec, s[0:1]
	global_load_dword v11, v[6:7], off offset:4
	s_brev_b32 s0, -2
	v_mov_b32_e32 v5, s5
	v_add_co_u32_e32 v4, vcc, s4, v8
	v_bfi_b32 v8, s0, v13, v12
	s_mov_b32 s0, 0x3f200000
	v_addc_co_u32_e32 v5, vcc, v5, v9, vcc
	global_store_dword v[4:5], v8, off
                                        ; implicit-def: $vgpr9
	s_waitcnt vmcnt(1)
	v_cmp_nlt_f32_e64 s[0:1], |v11|, s0
	s_and_saveexec_b64 s[8:9], s[0:1]
	s_xor_b64 s[0:1], exec, s[8:9]
	s_cbranch_execz .LBB4_75
; %bb.74:
	v_add_f32_e64 v8, |v11|, |v11|
	v_mul_f32_e32 v9, 0x3fb8aa3b, v8
	s_mov_b32 s8, 0x3fb8aa3b
	v_rndne_f32_e32 v12, v9
	v_sub_f32_e32 v13, v9, v12
	v_fma_f32 v9, v8, s8, -v9
	v_fmac_f32_e32 v9, 0x32a5705f, v8
	v_add_f32_e32 v9, v13, v9
	v_exp_f32_e32 v9, v9
	v_cvt_i32_f32_e32 v12, v12
	s_mov_b32 s8, 0xc2ce8ed0
	v_cmp_ngt_f32_e32 vcc, s8, v8
	s_mov_b32 s8, 0x42b17218
	v_ldexp_f32 v9, v9, v12
	v_cndmask_b32_e32 v9, 0, v9, vcc
	v_mov_b32_e32 v12, 0x7f800000
	v_cmp_nlt_f32_e32 vcc, s8, v8
	v_cndmask_b32_e32 v8, v12, v9, vcc
	v_add_f32_e32 v8, 1.0, v8
	v_rcp_f32_e32 v8, v8
	v_fma_f32 v9, v8, -2.0, 1.0
.LBB4_75:
	s_andn2_saveexec_b64 s[0:1], s[0:1]
; %bb.76:
	v_mul_f32_e32 v8, v11, v11
	v_mov_b32_e32 v9, 0x3ca908c9
	v_fmac_f32_e32 v9, 0xbbbac73d, v8
	v_mov_b32_e32 v12, 0xbd5c1c4e
	v_fmac_f32_e32 v12, v8, v9
	v_mov_b32_e32 v9, 0x3e088382
	v_fmac_f32_e32 v9, v8, v12
	v_mov_b32_e32 v12, 0xbeaaaa99
	v_fmac_f32_e32 v12, v8, v9
	v_mul_f32_e64 v9, |v11|, v12
	v_fma_f32 v9, v8, v9, |v11|
; %bb.77:
	s_or_b64 exec, exec, s[0:1]
	global_load_dword v8, v[6:7], off offset:8
	s_brev_b32 s0, -2
	v_bfi_b32 v9, s0, v9, v11
	s_mov_b32 s0, 0x3f200000
	global_store_dword v[4:5], v9, off offset:4
                                        ; implicit-def: $vgpr11
	s_waitcnt vmcnt(1)
	v_cmp_nlt_f32_e64 s[0:1], |v8|, s0
	s_and_saveexec_b64 s[8:9], s[0:1]
	s_xor_b64 s[0:1], exec, s[8:9]
	s_cbranch_execz .LBB4_79
; %bb.78:
	v_add_f32_e64 v9, |v8|, |v8|
	v_mul_f32_e32 v11, 0x3fb8aa3b, v9
	s_mov_b32 s8, 0x3fb8aa3b
	v_rndne_f32_e32 v12, v11
	v_sub_f32_e32 v13, v11, v12
	v_fma_f32 v11, v9, s8, -v11
	v_fmac_f32_e32 v11, 0x32a5705f, v9
	v_add_f32_e32 v11, v13, v11
	v_exp_f32_e32 v11, v11
	v_cvt_i32_f32_e32 v12, v12
	s_mov_b32 s8, 0xc2ce8ed0
	v_cmp_ngt_f32_e32 vcc, s8, v9
	s_mov_b32 s8, 0x42b17218
	v_ldexp_f32 v11, v11, v12
	v_cndmask_b32_e32 v11, 0, v11, vcc
	v_mov_b32_e32 v12, 0x7f800000
	v_cmp_nlt_f32_e32 vcc, s8, v9
	v_cndmask_b32_e32 v9, v12, v11, vcc
	v_add_f32_e32 v9, 1.0, v9
	v_rcp_f32_e32 v9, v9
	v_fma_f32 v11, v9, -2.0, 1.0
.LBB4_79:
	s_andn2_saveexec_b64 s[0:1], s[0:1]
; %bb.80:
	v_mul_f32_e32 v9, v8, v8
	v_mov_b32_e32 v11, 0x3ca908c9
	v_fmac_f32_e32 v11, 0xbbbac73d, v9
	v_mov_b32_e32 v12, 0xbd5c1c4e
	v_fmac_f32_e32 v12, v9, v11
	v_mov_b32_e32 v11, 0x3e088382
	v_fmac_f32_e32 v11, v9, v12
	v_mov_b32_e32 v12, 0xbeaaaa99
	v_fmac_f32_e32 v12, v9, v11
	v_mul_f32_e64 v11, |v8|, v12
	v_fma_f32 v11, v9, v11, |v8|
; %bb.81:
	s_or_b64 exec, exec, s[0:1]
	global_load_dword v9, v[6:7], off offset:12
	s_brev_b32 s0, -2
	v_bfi_b32 v8, s0, v11, v8
	s_mov_b32 s0, 0x3f200000
	global_store_dword v[4:5], v8, off offset:8
                                        ; implicit-def: $vgpr11
	;; [unrolled: 49-line block ×4, first 2 shown]
	s_waitcnt vmcnt(1)
	v_cmp_nlt_f32_e64 s[0:1], |v9|, s0
	s_and_saveexec_b64 s[8:9], s[0:1]
	s_xor_b64 s[0:1], exec, s[8:9]
	s_cbranch_execz .LBB4_91
; %bb.90:
	v_add_f32_e64 v8, |v9|, |v9|
	v_mul_f32_e32 v11, 0x3fb8aa3b, v8
	s_mov_b32 s8, 0x3fb8aa3b
	v_rndne_f32_e32 v12, v11
	v_sub_f32_e32 v13, v11, v12
	v_fma_f32 v11, v8, s8, -v11
	v_fmac_f32_e32 v11, 0x32a5705f, v8
	v_add_f32_e32 v11, v13, v11
	v_exp_f32_e32 v11, v11
	v_cvt_i32_f32_e32 v12, v12
	s_mov_b32 s8, 0xc2ce8ed0
	v_cmp_ngt_f32_e32 vcc, s8, v8
	s_mov_b32 s8, 0x42b17218
	v_ldexp_f32 v11, v11, v12
	v_cndmask_b32_e32 v11, 0, v11, vcc
	v_mov_b32_e32 v12, 0x7f800000
	v_cmp_nlt_f32_e32 vcc, s8, v8
	v_cndmask_b32_e32 v8, v12, v11, vcc
	v_add_f32_e32 v8, 1.0, v8
	v_rcp_f32_e32 v8, v8
	v_fma_f32 v11, v8, -2.0, 1.0
.LBB4_91:
	s_andn2_saveexec_b64 s[0:1], s[0:1]
; %bb.92:
	v_mul_f32_e32 v8, v9, v9
	v_mov_b32_e32 v11, 0x3ca908c9
	v_fmac_f32_e32 v11, 0xbbbac73d, v8
	v_mov_b32_e32 v12, 0xbd5c1c4e
	v_fmac_f32_e32 v12, v8, v11
	;; [unrolled: 2-line block ×4, first 2 shown]
	v_mul_f32_e64 v11, |v9|, v12
	v_fma_f32 v11, v8, v11, |v9|
; %bb.93:
	s_or_b64 exec, exec, s[0:1]
	global_load_dword v8, v[6:7], off offset:24
	s_brev_b32 s0, -2
	v_bfi_b32 v9, s0, v11, v9
	s_mov_b32 s0, 0x3f200000
	global_store_dword v[4:5], v9, off offset:20
                                        ; implicit-def: $vgpr9
	s_waitcnt vmcnt(1)
	v_cmp_nlt_f32_e64 s[0:1], |v8|, s0
	s_and_saveexec_b64 s[8:9], s[0:1]
	s_xor_b64 s[0:1], exec, s[8:9]
	s_cbranch_execz .LBB4_95
; %bb.94:
	v_add_f32_e64 v9, |v8|, |v8|
	v_mul_f32_e32 v11, 0x3fb8aa3b, v9
	s_mov_b32 s8, 0x3fb8aa3b
	v_rndne_f32_e32 v12, v11
	v_sub_f32_e32 v13, v11, v12
	v_fma_f32 v11, v9, s8, -v11
	v_fmac_f32_e32 v11, 0x32a5705f, v9
	v_add_f32_e32 v11, v13, v11
	v_exp_f32_e32 v11, v11
	v_cvt_i32_f32_e32 v12, v12
	s_mov_b32 s8, 0xc2ce8ed0
	v_cmp_ngt_f32_e32 vcc, s8, v9
	s_mov_b32 s8, 0x42b17218
	v_ldexp_f32 v11, v11, v12
	v_cndmask_b32_e32 v11, 0, v11, vcc
	v_mov_b32_e32 v12, 0x7f800000
	v_cmp_nlt_f32_e32 vcc, s8, v9
	v_cndmask_b32_e32 v9, v12, v11, vcc
	v_add_f32_e32 v9, 1.0, v9
	v_rcp_f32_e32 v9, v9
	v_fma_f32 v9, v9, -2.0, 1.0
.LBB4_95:
	s_andn2_saveexec_b64 s[0:1], s[0:1]
; %bb.96:
	v_mul_f32_e32 v9, v8, v8
	v_mov_b32_e32 v11, 0x3ca908c9
	v_fmac_f32_e32 v11, 0xbbbac73d, v9
	v_mov_b32_e32 v12, 0xbd5c1c4e
	v_fmac_f32_e32 v12, v9, v11
	;; [unrolled: 2-line block ×4, first 2 shown]
	v_mul_f32_e64 v11, |v8|, v12
	v_fma_f32 v9, v9, v11, |v8|
; %bb.97:
	s_or_b64 exec, exec, s[0:1]
	global_load_dword v11, v[6:7], off offset:28
	s_brev_b32 s0, -2
	v_bfi_b32 v6, s0, v9, v8
	s_mov_b32 s0, 0x3f200000
	global_store_dword v[4:5], v6, off offset:24
                                        ; implicit-def: $vgpr13
	s_waitcnt vmcnt(1)
	v_cmp_nlt_f32_e64 s[0:1], |v11|, s0
	s_and_saveexec_b64 s[8:9], s[0:1]
	s_xor_b64 s[0:1], exec, s[8:9]
	s_cbranch_execz .LBB4_99
; %bb.98:
	v_add_f32_e64 v6, |v11|, |v11|
	v_mul_f32_e32 v7, 0x3fb8aa3b, v6
	s_mov_b32 s8, 0x3fb8aa3b
	v_rndne_f32_e32 v8, v7
	v_sub_f32_e32 v9, v7, v8
	v_fma_f32 v7, v6, s8, -v7
	v_fmac_f32_e32 v7, 0x32a5705f, v6
	v_add_f32_e32 v7, v9, v7
	v_exp_f32_e32 v7, v7
	v_cvt_i32_f32_e32 v8, v8
	s_mov_b32 s8, 0xc2ce8ed0
	v_cmp_ngt_f32_e32 vcc, s8, v6
	s_mov_b32 s8, 0x42b17218
	v_ldexp_f32 v7, v7, v8
	v_cndmask_b32_e32 v7, 0, v7, vcc
	v_mov_b32_e32 v8, 0x7f800000
	v_cmp_nlt_f32_e32 vcc, s8, v6
	v_cndmask_b32_e32 v6, v8, v7, vcc
	v_add_f32_e32 v6, 1.0, v6
	v_rcp_f32_e32 v6, v6
	v_fma_f32 v13, v6, -2.0, 1.0
.LBB4_99:
	s_andn2_saveexec_b64 s[0:1], s[0:1]
; %bb.100:
	v_mul_f32_e32 v6, v11, v11
	v_mov_b32_e32 v7, 0x3ca908c9
	v_fmac_f32_e32 v7, 0xbbbac73d, v6
	v_mov_b32_e32 v8, 0xbd5c1c4e
	v_fmac_f32_e32 v8, v6, v7
	;; [unrolled: 2-line block ×4, first 2 shown]
	v_mul_f32_e64 v7, |v11|, v8
	v_fma_f32 v13, v6, v7, |v11|
; %bb.101:
	s_or_b64 exec, exec, s[0:1]
	v_add_u32_e32 v10, s10, v10
	v_add_co_u32_e32 v6, vcc, v2, v10
	v_addc_co_u32_e32 v7, vcc, 0, v3, vcc
	v_mul_lo_u32 v8, v6, s3
	v_mul_lo_u32 v9, v7, s2
	v_mad_u64_u32 v[6:7], s[0:1], v6, s2, v[0:1]
	v_add3_u32 v7, v9, v7, v8
	v_lshlrev_b64 v[8:9], 2, v[6:7]
	v_mov_b32_e32 v7, s7
	v_add_co_u32_e32 v6, vcc, s6, v8
	v_addc_co_u32_e32 v7, vcc, v7, v9, vcc
	global_load_dword v12, v[6:7], off
	s_brev_b32 s0, -2
	v_bfi_b32 v11, s0, v13, v11
	s_mov_b32 s0, 0x3f200000
	global_store_dword v[4:5], v11, off offset:28
                                        ; implicit-def: $vgpr13
	s_waitcnt vmcnt(1)
	v_cmp_nlt_f32_e64 s[0:1], |v12|, s0
	s_and_saveexec_b64 s[8:9], s[0:1]
	s_xor_b64 s[0:1], exec, s[8:9]
	s_cbranch_execz .LBB4_103
; %bb.102:
	v_add_f32_e64 v4, |v12|, |v12|
	v_mul_f32_e32 v5, 0x3fb8aa3b, v4
	s_mov_b32 s8, 0x3fb8aa3b
	v_rndne_f32_e32 v11, v5
	v_sub_f32_e32 v13, v5, v11
	v_fma_f32 v5, v4, s8, -v5
	v_fmac_f32_e32 v5, 0x32a5705f, v4
	v_add_f32_e32 v5, v13, v5
	v_exp_f32_e32 v5, v5
	v_cvt_i32_f32_e32 v11, v11
	s_mov_b32 s8, 0xc2ce8ed0
	v_cmp_ngt_f32_e32 vcc, s8, v4
	s_mov_b32 s8, 0x42b17218
	v_ldexp_f32 v5, v5, v11
	v_cndmask_b32_e32 v5, 0, v5, vcc
	v_mov_b32_e32 v11, 0x7f800000
	v_cmp_nlt_f32_e32 vcc, s8, v4
	v_cndmask_b32_e32 v4, v11, v5, vcc
	v_add_f32_e32 v4, 1.0, v4
	v_rcp_f32_e32 v4, v4
	v_fma_f32 v13, v4, -2.0, 1.0
.LBB4_103:
	s_andn2_saveexec_b64 s[0:1], s[0:1]
; %bb.104:
	v_mul_f32_e32 v4, v12, v12
	v_mov_b32_e32 v5, 0x3ca908c9
	v_fmac_f32_e32 v5, 0xbbbac73d, v4
	v_mov_b32_e32 v11, 0xbd5c1c4e
	v_fmac_f32_e32 v11, v4, v5
	;; [unrolled: 2-line block ×4, first 2 shown]
	v_mul_f32_e64 v5, |v12|, v11
	v_fma_f32 v13, v4, v5, |v12|
; %bb.105:
	s_or_b64 exec, exec, s[0:1]
	global_load_dword v11, v[6:7], off offset:4
	s_brev_b32 s0, -2
	v_mov_b32_e32 v5, s5
	v_add_co_u32_e32 v4, vcc, s4, v8
	v_bfi_b32 v8, s0, v13, v12
	s_mov_b32 s0, 0x3f200000
	v_addc_co_u32_e32 v5, vcc, v5, v9, vcc
	global_store_dword v[4:5], v8, off
                                        ; implicit-def: $vgpr9
	s_waitcnt vmcnt(1)
	v_cmp_nlt_f32_e64 s[0:1], |v11|, s0
	s_and_saveexec_b64 s[8:9], s[0:1]
	s_xor_b64 s[0:1], exec, s[8:9]
	s_cbranch_execz .LBB4_107
; %bb.106:
	v_add_f32_e64 v8, |v11|, |v11|
	v_mul_f32_e32 v9, 0x3fb8aa3b, v8
	s_mov_b32 s8, 0x3fb8aa3b
	v_rndne_f32_e32 v12, v9
	v_sub_f32_e32 v13, v9, v12
	v_fma_f32 v9, v8, s8, -v9
	v_fmac_f32_e32 v9, 0x32a5705f, v8
	v_add_f32_e32 v9, v13, v9
	v_exp_f32_e32 v9, v9
	v_cvt_i32_f32_e32 v12, v12
	s_mov_b32 s8, 0xc2ce8ed0
	v_cmp_ngt_f32_e32 vcc, s8, v8
	s_mov_b32 s8, 0x42b17218
	v_ldexp_f32 v9, v9, v12
	v_cndmask_b32_e32 v9, 0, v9, vcc
	v_mov_b32_e32 v12, 0x7f800000
	v_cmp_nlt_f32_e32 vcc, s8, v8
	v_cndmask_b32_e32 v8, v12, v9, vcc
	v_add_f32_e32 v8, 1.0, v8
	v_rcp_f32_e32 v8, v8
	v_fma_f32 v9, v8, -2.0, 1.0
.LBB4_107:
	s_andn2_saveexec_b64 s[0:1], s[0:1]
; %bb.108:
	v_mul_f32_e32 v8, v11, v11
	v_mov_b32_e32 v9, 0x3ca908c9
	v_fmac_f32_e32 v9, 0xbbbac73d, v8
	v_mov_b32_e32 v12, 0xbd5c1c4e
	v_fmac_f32_e32 v12, v8, v9
	v_mov_b32_e32 v9, 0x3e088382
	v_fmac_f32_e32 v9, v8, v12
	v_mov_b32_e32 v12, 0xbeaaaa99
	v_fmac_f32_e32 v12, v8, v9
	v_mul_f32_e64 v9, |v11|, v12
	v_fma_f32 v9, v8, v9, |v11|
; %bb.109:
	s_or_b64 exec, exec, s[0:1]
	global_load_dword v8, v[6:7], off offset:8
	s_brev_b32 s0, -2
	v_bfi_b32 v9, s0, v9, v11
	s_mov_b32 s0, 0x3f200000
	global_store_dword v[4:5], v9, off offset:4
                                        ; implicit-def: $vgpr11
	s_waitcnt vmcnt(1)
	v_cmp_nlt_f32_e64 s[0:1], |v8|, s0
	s_and_saveexec_b64 s[8:9], s[0:1]
	s_xor_b64 s[0:1], exec, s[8:9]
	s_cbranch_execz .LBB4_111
; %bb.110:
	v_add_f32_e64 v9, |v8|, |v8|
	v_mul_f32_e32 v11, 0x3fb8aa3b, v9
	s_mov_b32 s8, 0x3fb8aa3b
	v_rndne_f32_e32 v12, v11
	v_sub_f32_e32 v13, v11, v12
	v_fma_f32 v11, v9, s8, -v11
	v_fmac_f32_e32 v11, 0x32a5705f, v9
	v_add_f32_e32 v11, v13, v11
	v_exp_f32_e32 v11, v11
	v_cvt_i32_f32_e32 v12, v12
	s_mov_b32 s8, 0xc2ce8ed0
	v_cmp_ngt_f32_e32 vcc, s8, v9
	s_mov_b32 s8, 0x42b17218
	v_ldexp_f32 v11, v11, v12
	v_cndmask_b32_e32 v11, 0, v11, vcc
	v_mov_b32_e32 v12, 0x7f800000
	v_cmp_nlt_f32_e32 vcc, s8, v9
	v_cndmask_b32_e32 v9, v12, v11, vcc
	v_add_f32_e32 v9, 1.0, v9
	v_rcp_f32_e32 v9, v9
	v_fma_f32 v11, v9, -2.0, 1.0
.LBB4_111:
	s_andn2_saveexec_b64 s[0:1], s[0:1]
; %bb.112:
	v_mul_f32_e32 v9, v8, v8
	v_mov_b32_e32 v11, 0x3ca908c9
	v_fmac_f32_e32 v11, 0xbbbac73d, v9
	v_mov_b32_e32 v12, 0xbd5c1c4e
	v_fmac_f32_e32 v12, v9, v11
	v_mov_b32_e32 v11, 0x3e088382
	v_fmac_f32_e32 v11, v9, v12
	v_mov_b32_e32 v12, 0xbeaaaa99
	v_fmac_f32_e32 v12, v9, v11
	v_mul_f32_e64 v11, |v8|, v12
	v_fma_f32 v11, v9, v11, |v8|
; %bb.113:
	s_or_b64 exec, exec, s[0:1]
	global_load_dword v9, v[6:7], off offset:12
	s_brev_b32 s0, -2
	v_bfi_b32 v8, s0, v11, v8
	s_mov_b32 s0, 0x3f200000
	global_store_dword v[4:5], v8, off offset:8
                                        ; implicit-def: $vgpr11
	;; [unrolled: 49-line block ×4, first 2 shown]
	s_waitcnt vmcnt(1)
	v_cmp_nlt_f32_e64 s[0:1], |v9|, s0
	s_and_saveexec_b64 s[8:9], s[0:1]
	s_xor_b64 s[0:1], exec, s[8:9]
	s_cbranch_execz .LBB4_123
; %bb.122:
	v_add_f32_e64 v8, |v9|, |v9|
	v_mul_f32_e32 v11, 0x3fb8aa3b, v8
	s_mov_b32 s8, 0x3fb8aa3b
	v_rndne_f32_e32 v12, v11
	v_sub_f32_e32 v13, v11, v12
	v_fma_f32 v11, v8, s8, -v11
	v_fmac_f32_e32 v11, 0x32a5705f, v8
	v_add_f32_e32 v11, v13, v11
	v_exp_f32_e32 v11, v11
	v_cvt_i32_f32_e32 v12, v12
	s_mov_b32 s8, 0xc2ce8ed0
	v_cmp_ngt_f32_e32 vcc, s8, v8
	s_mov_b32 s8, 0x42b17218
	v_ldexp_f32 v11, v11, v12
	v_cndmask_b32_e32 v11, 0, v11, vcc
	v_mov_b32_e32 v12, 0x7f800000
	v_cmp_nlt_f32_e32 vcc, s8, v8
	v_cndmask_b32_e32 v8, v12, v11, vcc
	v_add_f32_e32 v8, 1.0, v8
	v_rcp_f32_e32 v8, v8
	v_fma_f32 v11, v8, -2.0, 1.0
.LBB4_123:
	s_andn2_saveexec_b64 s[0:1], s[0:1]
; %bb.124:
	v_mul_f32_e32 v8, v9, v9
	v_mov_b32_e32 v11, 0x3ca908c9
	v_fmac_f32_e32 v11, 0xbbbac73d, v8
	v_mov_b32_e32 v12, 0xbd5c1c4e
	v_fmac_f32_e32 v12, v8, v11
	;; [unrolled: 2-line block ×4, first 2 shown]
	v_mul_f32_e64 v11, |v9|, v12
	v_fma_f32 v11, v8, v11, |v9|
; %bb.125:
	s_or_b64 exec, exec, s[0:1]
	global_load_dword v8, v[6:7], off offset:24
	s_brev_b32 s0, -2
	v_bfi_b32 v9, s0, v11, v9
	s_mov_b32 s0, 0x3f200000
	global_store_dword v[4:5], v9, off offset:20
                                        ; implicit-def: $vgpr9
	s_waitcnt vmcnt(1)
	v_cmp_nlt_f32_e64 s[0:1], |v8|, s0
	s_and_saveexec_b64 s[8:9], s[0:1]
	s_xor_b64 s[0:1], exec, s[8:9]
	s_cbranch_execz .LBB4_127
; %bb.126:
	v_add_f32_e64 v9, |v8|, |v8|
	v_mul_f32_e32 v11, 0x3fb8aa3b, v9
	s_mov_b32 s8, 0x3fb8aa3b
	v_rndne_f32_e32 v12, v11
	v_sub_f32_e32 v13, v11, v12
	v_fma_f32 v11, v9, s8, -v11
	v_fmac_f32_e32 v11, 0x32a5705f, v9
	v_add_f32_e32 v11, v13, v11
	v_exp_f32_e32 v11, v11
	v_cvt_i32_f32_e32 v12, v12
	s_mov_b32 s8, 0xc2ce8ed0
	v_cmp_ngt_f32_e32 vcc, s8, v9
	s_mov_b32 s8, 0x42b17218
	v_ldexp_f32 v11, v11, v12
	v_cndmask_b32_e32 v11, 0, v11, vcc
	v_mov_b32_e32 v12, 0x7f800000
	v_cmp_nlt_f32_e32 vcc, s8, v9
	v_cndmask_b32_e32 v9, v12, v11, vcc
	v_add_f32_e32 v9, 1.0, v9
	v_rcp_f32_e32 v9, v9
	v_fma_f32 v9, v9, -2.0, 1.0
.LBB4_127:
	s_andn2_saveexec_b64 s[0:1], s[0:1]
; %bb.128:
	v_mul_f32_e32 v9, v8, v8
	v_mov_b32_e32 v11, 0x3ca908c9
	v_fmac_f32_e32 v11, 0xbbbac73d, v9
	v_mov_b32_e32 v12, 0xbd5c1c4e
	v_fmac_f32_e32 v12, v9, v11
	;; [unrolled: 2-line block ×4, first 2 shown]
	v_mul_f32_e64 v11, |v8|, v12
	v_fma_f32 v9, v9, v11, |v8|
; %bb.129:
	s_or_b64 exec, exec, s[0:1]
	global_load_dword v11, v[6:7], off offset:28
	s_brev_b32 s0, -2
	v_bfi_b32 v6, s0, v9, v8
	s_mov_b32 s0, 0x3f200000
	global_store_dword v[4:5], v6, off offset:24
                                        ; implicit-def: $vgpr13
	s_waitcnt vmcnt(1)
	v_cmp_nlt_f32_e64 s[0:1], |v11|, s0
	s_and_saveexec_b64 s[8:9], s[0:1]
	s_xor_b64 s[0:1], exec, s[8:9]
	s_cbranch_execz .LBB4_131
; %bb.130:
	v_add_f32_e64 v6, |v11|, |v11|
	v_mul_f32_e32 v7, 0x3fb8aa3b, v6
	s_mov_b32 s8, 0x3fb8aa3b
	v_rndne_f32_e32 v8, v7
	v_sub_f32_e32 v9, v7, v8
	v_fma_f32 v7, v6, s8, -v7
	v_fmac_f32_e32 v7, 0x32a5705f, v6
	v_add_f32_e32 v7, v9, v7
	v_exp_f32_e32 v7, v7
	v_cvt_i32_f32_e32 v8, v8
	s_mov_b32 s8, 0xc2ce8ed0
	v_cmp_ngt_f32_e32 vcc, s8, v6
	s_mov_b32 s8, 0x42b17218
	v_ldexp_f32 v7, v7, v8
	v_cndmask_b32_e32 v7, 0, v7, vcc
	v_mov_b32_e32 v8, 0x7f800000
	v_cmp_nlt_f32_e32 vcc, s8, v6
	v_cndmask_b32_e32 v6, v8, v7, vcc
	v_add_f32_e32 v6, 1.0, v6
	v_rcp_f32_e32 v6, v6
	v_fma_f32 v13, v6, -2.0, 1.0
.LBB4_131:
	s_andn2_saveexec_b64 s[0:1], s[0:1]
; %bb.132:
	v_mul_f32_e32 v6, v11, v11
	v_mov_b32_e32 v7, 0x3ca908c9
	v_fmac_f32_e32 v7, 0xbbbac73d, v6
	v_mov_b32_e32 v8, 0xbd5c1c4e
	v_fmac_f32_e32 v8, v6, v7
	;; [unrolled: 2-line block ×4, first 2 shown]
	v_mul_f32_e64 v7, |v11|, v8
	v_fma_f32 v13, v6, v7, |v11|
; %bb.133:
	s_or_b64 exec, exec, s[0:1]
	v_add_u32_e32 v10, s10, v10
	v_add_co_u32_e32 v6, vcc, v2, v10
	v_addc_co_u32_e32 v7, vcc, 0, v3, vcc
	v_mul_lo_u32 v8, v6, s3
	v_mul_lo_u32 v9, v7, s2
	v_mad_u64_u32 v[6:7], s[0:1], v6, s2, v[0:1]
	v_add3_u32 v7, v9, v7, v8
	v_lshlrev_b64 v[8:9], 2, v[6:7]
	v_mov_b32_e32 v7, s7
	v_add_co_u32_e32 v6, vcc, s6, v8
	v_addc_co_u32_e32 v7, vcc, v7, v9, vcc
	global_load_dword v12, v[6:7], off
	s_brev_b32 s0, -2
	v_bfi_b32 v11, s0, v13, v11
	s_mov_b32 s0, 0x3f200000
	global_store_dword v[4:5], v11, off offset:28
                                        ; implicit-def: $vgpr13
	s_waitcnt vmcnt(1)
	v_cmp_nlt_f32_e64 s[0:1], |v12|, s0
	s_and_saveexec_b64 s[8:9], s[0:1]
	s_xor_b64 s[0:1], exec, s[8:9]
	s_cbranch_execz .LBB4_135
; %bb.134:
	v_add_f32_e64 v4, |v12|, |v12|
	v_mul_f32_e32 v5, 0x3fb8aa3b, v4
	s_mov_b32 s8, 0x3fb8aa3b
	v_rndne_f32_e32 v11, v5
	v_sub_f32_e32 v13, v5, v11
	v_fma_f32 v5, v4, s8, -v5
	v_fmac_f32_e32 v5, 0x32a5705f, v4
	v_add_f32_e32 v5, v13, v5
	v_exp_f32_e32 v5, v5
	v_cvt_i32_f32_e32 v11, v11
	s_mov_b32 s8, 0xc2ce8ed0
	v_cmp_ngt_f32_e32 vcc, s8, v4
	s_mov_b32 s8, 0x42b17218
	v_ldexp_f32 v5, v5, v11
	v_cndmask_b32_e32 v5, 0, v5, vcc
	v_mov_b32_e32 v11, 0x7f800000
	v_cmp_nlt_f32_e32 vcc, s8, v4
	v_cndmask_b32_e32 v4, v11, v5, vcc
	v_add_f32_e32 v4, 1.0, v4
	v_rcp_f32_e32 v4, v4
	v_fma_f32 v13, v4, -2.0, 1.0
.LBB4_135:
	s_andn2_saveexec_b64 s[0:1], s[0:1]
; %bb.136:
	v_mul_f32_e32 v4, v12, v12
	v_mov_b32_e32 v5, 0x3ca908c9
	v_fmac_f32_e32 v5, 0xbbbac73d, v4
	v_mov_b32_e32 v11, 0xbd5c1c4e
	v_fmac_f32_e32 v11, v4, v5
	;; [unrolled: 2-line block ×4, first 2 shown]
	v_mul_f32_e64 v5, |v12|, v11
	v_fma_f32 v13, v4, v5, |v12|
; %bb.137:
	s_or_b64 exec, exec, s[0:1]
	global_load_dword v11, v[6:7], off offset:4
	s_brev_b32 s0, -2
	v_mov_b32_e32 v5, s5
	v_add_co_u32_e32 v4, vcc, s4, v8
	v_bfi_b32 v8, s0, v13, v12
	s_mov_b32 s0, 0x3f200000
	v_addc_co_u32_e32 v5, vcc, v5, v9, vcc
	global_store_dword v[4:5], v8, off
                                        ; implicit-def: $vgpr9
	s_waitcnt vmcnt(1)
	v_cmp_nlt_f32_e64 s[0:1], |v11|, s0
	s_and_saveexec_b64 s[8:9], s[0:1]
	s_xor_b64 s[0:1], exec, s[8:9]
	s_cbranch_execz .LBB4_139
; %bb.138:
	v_add_f32_e64 v8, |v11|, |v11|
	v_mul_f32_e32 v9, 0x3fb8aa3b, v8
	s_mov_b32 s8, 0x3fb8aa3b
	v_rndne_f32_e32 v12, v9
	v_sub_f32_e32 v13, v9, v12
	v_fma_f32 v9, v8, s8, -v9
	v_fmac_f32_e32 v9, 0x32a5705f, v8
	v_add_f32_e32 v9, v13, v9
	v_exp_f32_e32 v9, v9
	v_cvt_i32_f32_e32 v12, v12
	s_mov_b32 s8, 0xc2ce8ed0
	v_cmp_ngt_f32_e32 vcc, s8, v8
	s_mov_b32 s8, 0x42b17218
	v_ldexp_f32 v9, v9, v12
	v_cndmask_b32_e32 v9, 0, v9, vcc
	v_mov_b32_e32 v12, 0x7f800000
	v_cmp_nlt_f32_e32 vcc, s8, v8
	v_cndmask_b32_e32 v8, v12, v9, vcc
	v_add_f32_e32 v8, 1.0, v8
	v_rcp_f32_e32 v8, v8
	v_fma_f32 v9, v8, -2.0, 1.0
.LBB4_139:
	s_andn2_saveexec_b64 s[0:1], s[0:1]
; %bb.140:
	v_mul_f32_e32 v8, v11, v11
	v_mov_b32_e32 v9, 0x3ca908c9
	v_fmac_f32_e32 v9, 0xbbbac73d, v8
	v_mov_b32_e32 v12, 0xbd5c1c4e
	v_fmac_f32_e32 v12, v8, v9
	v_mov_b32_e32 v9, 0x3e088382
	v_fmac_f32_e32 v9, v8, v12
	v_mov_b32_e32 v12, 0xbeaaaa99
	v_fmac_f32_e32 v12, v8, v9
	v_mul_f32_e64 v9, |v11|, v12
	v_fma_f32 v9, v8, v9, |v11|
; %bb.141:
	s_or_b64 exec, exec, s[0:1]
	global_load_dword v8, v[6:7], off offset:8
	s_brev_b32 s0, -2
	v_bfi_b32 v9, s0, v9, v11
	s_mov_b32 s0, 0x3f200000
	global_store_dword v[4:5], v9, off offset:4
                                        ; implicit-def: $vgpr11
	s_waitcnt vmcnt(1)
	v_cmp_nlt_f32_e64 s[0:1], |v8|, s0
	s_and_saveexec_b64 s[8:9], s[0:1]
	s_xor_b64 s[0:1], exec, s[8:9]
	s_cbranch_execz .LBB4_143
; %bb.142:
	v_add_f32_e64 v9, |v8|, |v8|
	v_mul_f32_e32 v11, 0x3fb8aa3b, v9
	s_mov_b32 s8, 0x3fb8aa3b
	v_rndne_f32_e32 v12, v11
	v_sub_f32_e32 v13, v11, v12
	v_fma_f32 v11, v9, s8, -v11
	v_fmac_f32_e32 v11, 0x32a5705f, v9
	v_add_f32_e32 v11, v13, v11
	v_exp_f32_e32 v11, v11
	v_cvt_i32_f32_e32 v12, v12
	s_mov_b32 s8, 0xc2ce8ed0
	v_cmp_ngt_f32_e32 vcc, s8, v9
	s_mov_b32 s8, 0x42b17218
	v_ldexp_f32 v11, v11, v12
	v_cndmask_b32_e32 v11, 0, v11, vcc
	v_mov_b32_e32 v12, 0x7f800000
	v_cmp_nlt_f32_e32 vcc, s8, v9
	v_cndmask_b32_e32 v9, v12, v11, vcc
	v_add_f32_e32 v9, 1.0, v9
	v_rcp_f32_e32 v9, v9
	v_fma_f32 v11, v9, -2.0, 1.0
.LBB4_143:
	s_andn2_saveexec_b64 s[0:1], s[0:1]
; %bb.144:
	v_mul_f32_e32 v9, v8, v8
	v_mov_b32_e32 v11, 0x3ca908c9
	v_fmac_f32_e32 v11, 0xbbbac73d, v9
	v_mov_b32_e32 v12, 0xbd5c1c4e
	v_fmac_f32_e32 v12, v9, v11
	v_mov_b32_e32 v11, 0x3e088382
	v_fmac_f32_e32 v11, v9, v12
	v_mov_b32_e32 v12, 0xbeaaaa99
	v_fmac_f32_e32 v12, v9, v11
	v_mul_f32_e64 v11, |v8|, v12
	v_fma_f32 v11, v9, v11, |v8|
; %bb.145:
	s_or_b64 exec, exec, s[0:1]
	global_load_dword v9, v[6:7], off offset:12
	s_brev_b32 s0, -2
	v_bfi_b32 v8, s0, v11, v8
	s_mov_b32 s0, 0x3f200000
	global_store_dword v[4:5], v8, off offset:8
                                        ; implicit-def: $vgpr11
	;; [unrolled: 49-line block ×4, first 2 shown]
	s_waitcnt vmcnt(1)
	v_cmp_nlt_f32_e64 s[0:1], |v9|, s0
	s_and_saveexec_b64 s[8:9], s[0:1]
	s_xor_b64 s[0:1], exec, s[8:9]
	s_cbranch_execz .LBB4_155
; %bb.154:
	v_add_f32_e64 v8, |v9|, |v9|
	v_mul_f32_e32 v11, 0x3fb8aa3b, v8
	s_mov_b32 s8, 0x3fb8aa3b
	v_rndne_f32_e32 v12, v11
	v_sub_f32_e32 v13, v11, v12
	v_fma_f32 v11, v8, s8, -v11
	v_fmac_f32_e32 v11, 0x32a5705f, v8
	v_add_f32_e32 v11, v13, v11
	v_exp_f32_e32 v11, v11
	v_cvt_i32_f32_e32 v12, v12
	s_mov_b32 s8, 0xc2ce8ed0
	v_cmp_ngt_f32_e32 vcc, s8, v8
	s_mov_b32 s8, 0x42b17218
	v_ldexp_f32 v11, v11, v12
	v_cndmask_b32_e32 v11, 0, v11, vcc
	v_mov_b32_e32 v12, 0x7f800000
	v_cmp_nlt_f32_e32 vcc, s8, v8
	v_cndmask_b32_e32 v8, v12, v11, vcc
	v_add_f32_e32 v8, 1.0, v8
	v_rcp_f32_e32 v8, v8
	v_fma_f32 v11, v8, -2.0, 1.0
.LBB4_155:
	s_andn2_saveexec_b64 s[0:1], s[0:1]
; %bb.156:
	v_mul_f32_e32 v8, v9, v9
	v_mov_b32_e32 v11, 0x3ca908c9
	v_fmac_f32_e32 v11, 0xbbbac73d, v8
	v_mov_b32_e32 v12, 0xbd5c1c4e
	v_fmac_f32_e32 v12, v8, v11
	;; [unrolled: 2-line block ×4, first 2 shown]
	v_mul_f32_e64 v11, |v9|, v12
	v_fma_f32 v11, v8, v11, |v9|
; %bb.157:
	s_or_b64 exec, exec, s[0:1]
	global_load_dword v8, v[6:7], off offset:24
	s_brev_b32 s0, -2
	v_bfi_b32 v9, s0, v11, v9
	s_mov_b32 s0, 0x3f200000
	global_store_dword v[4:5], v9, off offset:20
                                        ; implicit-def: $vgpr9
	s_waitcnt vmcnt(1)
	v_cmp_nlt_f32_e64 s[0:1], |v8|, s0
	s_and_saveexec_b64 s[8:9], s[0:1]
	s_xor_b64 s[0:1], exec, s[8:9]
	s_cbranch_execz .LBB4_159
; %bb.158:
	v_add_f32_e64 v9, |v8|, |v8|
	v_mul_f32_e32 v11, 0x3fb8aa3b, v9
	s_mov_b32 s8, 0x3fb8aa3b
	v_rndne_f32_e32 v12, v11
	v_sub_f32_e32 v13, v11, v12
	v_fma_f32 v11, v9, s8, -v11
	v_fmac_f32_e32 v11, 0x32a5705f, v9
	v_add_f32_e32 v11, v13, v11
	v_exp_f32_e32 v11, v11
	v_cvt_i32_f32_e32 v12, v12
	s_mov_b32 s8, 0xc2ce8ed0
	v_cmp_ngt_f32_e32 vcc, s8, v9
	s_mov_b32 s8, 0x42b17218
	v_ldexp_f32 v11, v11, v12
	v_cndmask_b32_e32 v11, 0, v11, vcc
	v_mov_b32_e32 v12, 0x7f800000
	v_cmp_nlt_f32_e32 vcc, s8, v9
	v_cndmask_b32_e32 v9, v12, v11, vcc
	v_add_f32_e32 v9, 1.0, v9
	v_rcp_f32_e32 v9, v9
	v_fma_f32 v9, v9, -2.0, 1.0
.LBB4_159:
	s_andn2_saveexec_b64 s[0:1], s[0:1]
; %bb.160:
	v_mul_f32_e32 v9, v8, v8
	v_mov_b32_e32 v11, 0x3ca908c9
	v_fmac_f32_e32 v11, 0xbbbac73d, v9
	v_mov_b32_e32 v12, 0xbd5c1c4e
	v_fmac_f32_e32 v12, v9, v11
	;; [unrolled: 2-line block ×4, first 2 shown]
	v_mul_f32_e64 v11, |v8|, v12
	v_fma_f32 v9, v9, v11, |v8|
; %bb.161:
	s_or_b64 exec, exec, s[0:1]
	global_load_dword v11, v[6:7], off offset:28
	s_brev_b32 s0, -2
	v_bfi_b32 v6, s0, v9, v8
	s_mov_b32 s0, 0x3f200000
	global_store_dword v[4:5], v6, off offset:24
                                        ; implicit-def: $vgpr13
	s_waitcnt vmcnt(1)
	v_cmp_nlt_f32_e64 s[0:1], |v11|, s0
	s_and_saveexec_b64 s[8:9], s[0:1]
	s_xor_b64 s[0:1], exec, s[8:9]
	s_cbranch_execz .LBB4_163
; %bb.162:
	v_add_f32_e64 v6, |v11|, |v11|
	v_mul_f32_e32 v7, 0x3fb8aa3b, v6
	s_mov_b32 s8, 0x3fb8aa3b
	v_rndne_f32_e32 v8, v7
	v_sub_f32_e32 v9, v7, v8
	v_fma_f32 v7, v6, s8, -v7
	v_fmac_f32_e32 v7, 0x32a5705f, v6
	v_add_f32_e32 v7, v9, v7
	v_exp_f32_e32 v7, v7
	v_cvt_i32_f32_e32 v8, v8
	s_mov_b32 s8, 0xc2ce8ed0
	v_cmp_ngt_f32_e32 vcc, s8, v6
	s_mov_b32 s8, 0x42b17218
	v_ldexp_f32 v7, v7, v8
	v_cndmask_b32_e32 v7, 0, v7, vcc
	v_mov_b32_e32 v8, 0x7f800000
	v_cmp_nlt_f32_e32 vcc, s8, v6
	v_cndmask_b32_e32 v6, v8, v7, vcc
	v_add_f32_e32 v6, 1.0, v6
	v_rcp_f32_e32 v6, v6
	v_fma_f32 v13, v6, -2.0, 1.0
.LBB4_163:
	s_andn2_saveexec_b64 s[0:1], s[0:1]
; %bb.164:
	v_mul_f32_e32 v6, v11, v11
	v_mov_b32_e32 v7, 0x3ca908c9
	v_fmac_f32_e32 v7, 0xbbbac73d, v6
	v_mov_b32_e32 v8, 0xbd5c1c4e
	v_fmac_f32_e32 v8, v6, v7
	;; [unrolled: 2-line block ×4, first 2 shown]
	v_mul_f32_e64 v7, |v11|, v8
	v_fma_f32 v13, v6, v7, |v11|
; %bb.165:
	s_or_b64 exec, exec, s[0:1]
	v_add_u32_e32 v10, s10, v10
	v_add_co_u32_e32 v6, vcc, v2, v10
	v_addc_co_u32_e32 v7, vcc, 0, v3, vcc
	v_mul_lo_u32 v8, v6, s3
	v_mul_lo_u32 v9, v7, s2
	v_mad_u64_u32 v[6:7], s[0:1], v6, s2, v[0:1]
	v_add3_u32 v7, v9, v7, v8
	v_lshlrev_b64 v[8:9], 2, v[6:7]
	v_mov_b32_e32 v7, s7
	v_add_co_u32_e32 v6, vcc, s6, v8
	v_addc_co_u32_e32 v7, vcc, v7, v9, vcc
	global_load_dword v12, v[6:7], off
	s_brev_b32 s0, -2
	v_bfi_b32 v11, s0, v13, v11
	s_mov_b32 s0, 0x3f200000
	global_store_dword v[4:5], v11, off offset:28
                                        ; implicit-def: $vgpr13
	s_waitcnt vmcnt(1)
	v_cmp_nlt_f32_e64 s[0:1], |v12|, s0
	s_and_saveexec_b64 s[8:9], s[0:1]
	s_xor_b64 s[0:1], exec, s[8:9]
	s_cbranch_execz .LBB4_167
; %bb.166:
	v_add_f32_e64 v4, |v12|, |v12|
	v_mul_f32_e32 v5, 0x3fb8aa3b, v4
	s_mov_b32 s8, 0x3fb8aa3b
	v_rndne_f32_e32 v11, v5
	v_sub_f32_e32 v13, v5, v11
	v_fma_f32 v5, v4, s8, -v5
	v_fmac_f32_e32 v5, 0x32a5705f, v4
	v_add_f32_e32 v5, v13, v5
	v_exp_f32_e32 v5, v5
	v_cvt_i32_f32_e32 v11, v11
	s_mov_b32 s8, 0xc2ce8ed0
	v_cmp_ngt_f32_e32 vcc, s8, v4
	s_mov_b32 s8, 0x42b17218
	v_ldexp_f32 v5, v5, v11
	v_cndmask_b32_e32 v5, 0, v5, vcc
	v_mov_b32_e32 v11, 0x7f800000
	v_cmp_nlt_f32_e32 vcc, s8, v4
	v_cndmask_b32_e32 v4, v11, v5, vcc
	v_add_f32_e32 v4, 1.0, v4
	v_rcp_f32_e32 v4, v4
	v_fma_f32 v13, v4, -2.0, 1.0
.LBB4_167:
	s_andn2_saveexec_b64 s[0:1], s[0:1]
; %bb.168:
	v_mul_f32_e32 v4, v12, v12
	v_mov_b32_e32 v5, 0x3ca908c9
	v_fmac_f32_e32 v5, 0xbbbac73d, v4
	v_mov_b32_e32 v11, 0xbd5c1c4e
	v_fmac_f32_e32 v11, v4, v5
	v_mov_b32_e32 v5, 0x3e088382
	v_fmac_f32_e32 v5, v4, v11
	v_mov_b32_e32 v11, 0xbeaaaa99
	v_fmac_f32_e32 v11, v4, v5
	v_mul_f32_e64 v5, |v12|, v11
	v_fma_f32 v13, v4, v5, |v12|
; %bb.169:
	s_or_b64 exec, exec, s[0:1]
	global_load_dword v11, v[6:7], off offset:4
	s_brev_b32 s0, -2
	v_mov_b32_e32 v5, s5
	v_add_co_u32_e32 v4, vcc, s4, v8
	v_bfi_b32 v8, s0, v13, v12
	s_mov_b32 s0, 0x3f200000
	v_addc_co_u32_e32 v5, vcc, v5, v9, vcc
	global_store_dword v[4:5], v8, off
                                        ; implicit-def: $vgpr9
	s_waitcnt vmcnt(1)
	v_cmp_nlt_f32_e64 s[0:1], |v11|, s0
	s_and_saveexec_b64 s[8:9], s[0:1]
	s_xor_b64 s[0:1], exec, s[8:9]
	s_cbranch_execz .LBB4_171
; %bb.170:
	v_add_f32_e64 v8, |v11|, |v11|
	v_mul_f32_e32 v9, 0x3fb8aa3b, v8
	s_mov_b32 s8, 0x3fb8aa3b
	v_rndne_f32_e32 v12, v9
	v_sub_f32_e32 v13, v9, v12
	v_fma_f32 v9, v8, s8, -v9
	v_fmac_f32_e32 v9, 0x32a5705f, v8
	v_add_f32_e32 v9, v13, v9
	v_exp_f32_e32 v9, v9
	v_cvt_i32_f32_e32 v12, v12
	s_mov_b32 s8, 0xc2ce8ed0
	v_cmp_ngt_f32_e32 vcc, s8, v8
	s_mov_b32 s8, 0x42b17218
	v_ldexp_f32 v9, v9, v12
	v_cndmask_b32_e32 v9, 0, v9, vcc
	v_mov_b32_e32 v12, 0x7f800000
	v_cmp_nlt_f32_e32 vcc, s8, v8
	v_cndmask_b32_e32 v8, v12, v9, vcc
	v_add_f32_e32 v8, 1.0, v8
	v_rcp_f32_e32 v8, v8
	v_fma_f32 v9, v8, -2.0, 1.0
.LBB4_171:
	s_andn2_saveexec_b64 s[0:1], s[0:1]
; %bb.172:
	v_mul_f32_e32 v8, v11, v11
	v_mov_b32_e32 v9, 0x3ca908c9
	v_fmac_f32_e32 v9, 0xbbbac73d, v8
	v_mov_b32_e32 v12, 0xbd5c1c4e
	v_fmac_f32_e32 v12, v8, v9
	v_mov_b32_e32 v9, 0x3e088382
	v_fmac_f32_e32 v9, v8, v12
	v_mov_b32_e32 v12, 0xbeaaaa99
	v_fmac_f32_e32 v12, v8, v9
	v_mul_f32_e64 v9, |v11|, v12
	v_fma_f32 v9, v8, v9, |v11|
; %bb.173:
	s_or_b64 exec, exec, s[0:1]
	global_load_dword v8, v[6:7], off offset:8
	s_brev_b32 s0, -2
	v_bfi_b32 v9, s0, v9, v11
	s_mov_b32 s0, 0x3f200000
	global_store_dword v[4:5], v9, off offset:4
                                        ; implicit-def: $vgpr11
	s_waitcnt vmcnt(1)
	v_cmp_nlt_f32_e64 s[0:1], |v8|, s0
	s_and_saveexec_b64 s[8:9], s[0:1]
	s_xor_b64 s[0:1], exec, s[8:9]
	s_cbranch_execz .LBB4_175
; %bb.174:
	v_add_f32_e64 v9, |v8|, |v8|
	v_mul_f32_e32 v11, 0x3fb8aa3b, v9
	s_mov_b32 s8, 0x3fb8aa3b
	v_rndne_f32_e32 v12, v11
	v_sub_f32_e32 v13, v11, v12
	v_fma_f32 v11, v9, s8, -v11
	v_fmac_f32_e32 v11, 0x32a5705f, v9
	v_add_f32_e32 v11, v13, v11
	v_exp_f32_e32 v11, v11
	v_cvt_i32_f32_e32 v12, v12
	s_mov_b32 s8, 0xc2ce8ed0
	v_cmp_ngt_f32_e32 vcc, s8, v9
	s_mov_b32 s8, 0x42b17218
	v_ldexp_f32 v11, v11, v12
	v_cndmask_b32_e32 v11, 0, v11, vcc
	v_mov_b32_e32 v12, 0x7f800000
	v_cmp_nlt_f32_e32 vcc, s8, v9
	v_cndmask_b32_e32 v9, v12, v11, vcc
	v_add_f32_e32 v9, 1.0, v9
	v_rcp_f32_e32 v9, v9
	v_fma_f32 v11, v9, -2.0, 1.0
.LBB4_175:
	s_andn2_saveexec_b64 s[0:1], s[0:1]
; %bb.176:
	v_mul_f32_e32 v9, v8, v8
	v_mov_b32_e32 v11, 0x3ca908c9
	v_fmac_f32_e32 v11, 0xbbbac73d, v9
	v_mov_b32_e32 v12, 0xbd5c1c4e
	v_fmac_f32_e32 v12, v9, v11
	v_mov_b32_e32 v11, 0x3e088382
	v_fmac_f32_e32 v11, v9, v12
	v_mov_b32_e32 v12, 0xbeaaaa99
	v_fmac_f32_e32 v12, v9, v11
	v_mul_f32_e64 v11, |v8|, v12
	v_fma_f32 v11, v9, v11, |v8|
; %bb.177:
	s_or_b64 exec, exec, s[0:1]
	global_load_dword v9, v[6:7], off offset:12
	s_brev_b32 s0, -2
	v_bfi_b32 v8, s0, v11, v8
	s_mov_b32 s0, 0x3f200000
	global_store_dword v[4:5], v8, off offset:8
                                        ; implicit-def: $vgpr11
	;; [unrolled: 49-line block ×4, first 2 shown]
	s_waitcnt vmcnt(1)
	v_cmp_nlt_f32_e64 s[0:1], |v9|, s0
	s_and_saveexec_b64 s[8:9], s[0:1]
	s_xor_b64 s[0:1], exec, s[8:9]
	s_cbranch_execz .LBB4_187
; %bb.186:
	v_add_f32_e64 v8, |v9|, |v9|
	v_mul_f32_e32 v11, 0x3fb8aa3b, v8
	s_mov_b32 s8, 0x3fb8aa3b
	v_rndne_f32_e32 v12, v11
	v_sub_f32_e32 v13, v11, v12
	v_fma_f32 v11, v8, s8, -v11
	v_fmac_f32_e32 v11, 0x32a5705f, v8
	v_add_f32_e32 v11, v13, v11
	v_exp_f32_e32 v11, v11
	v_cvt_i32_f32_e32 v12, v12
	s_mov_b32 s8, 0xc2ce8ed0
	v_cmp_ngt_f32_e32 vcc, s8, v8
	s_mov_b32 s8, 0x42b17218
	v_ldexp_f32 v11, v11, v12
	v_cndmask_b32_e32 v11, 0, v11, vcc
	v_mov_b32_e32 v12, 0x7f800000
	v_cmp_nlt_f32_e32 vcc, s8, v8
	v_cndmask_b32_e32 v8, v12, v11, vcc
	v_add_f32_e32 v8, 1.0, v8
	v_rcp_f32_e32 v8, v8
	v_fma_f32 v11, v8, -2.0, 1.0
.LBB4_187:
	s_andn2_saveexec_b64 s[0:1], s[0:1]
; %bb.188:
	v_mul_f32_e32 v8, v9, v9
	v_mov_b32_e32 v11, 0x3ca908c9
	v_fmac_f32_e32 v11, 0xbbbac73d, v8
	v_mov_b32_e32 v12, 0xbd5c1c4e
	v_fmac_f32_e32 v12, v8, v11
	;; [unrolled: 2-line block ×4, first 2 shown]
	v_mul_f32_e64 v11, |v9|, v12
	v_fma_f32 v11, v8, v11, |v9|
; %bb.189:
	s_or_b64 exec, exec, s[0:1]
	global_load_dword v8, v[6:7], off offset:24
	s_brev_b32 s0, -2
	v_bfi_b32 v9, s0, v11, v9
	s_mov_b32 s0, 0x3f200000
	global_store_dword v[4:5], v9, off offset:20
                                        ; implicit-def: $vgpr9
	s_waitcnt vmcnt(1)
	v_cmp_nlt_f32_e64 s[0:1], |v8|, s0
	s_and_saveexec_b64 s[8:9], s[0:1]
	s_xor_b64 s[0:1], exec, s[8:9]
	s_cbranch_execz .LBB4_191
; %bb.190:
	v_add_f32_e64 v9, |v8|, |v8|
	v_mul_f32_e32 v11, 0x3fb8aa3b, v9
	s_mov_b32 s8, 0x3fb8aa3b
	v_rndne_f32_e32 v12, v11
	v_sub_f32_e32 v13, v11, v12
	v_fma_f32 v11, v9, s8, -v11
	v_fmac_f32_e32 v11, 0x32a5705f, v9
	v_add_f32_e32 v11, v13, v11
	v_exp_f32_e32 v11, v11
	v_cvt_i32_f32_e32 v12, v12
	s_mov_b32 s8, 0xc2ce8ed0
	v_cmp_ngt_f32_e32 vcc, s8, v9
	s_mov_b32 s8, 0x42b17218
	v_ldexp_f32 v11, v11, v12
	v_cndmask_b32_e32 v11, 0, v11, vcc
	v_mov_b32_e32 v12, 0x7f800000
	v_cmp_nlt_f32_e32 vcc, s8, v9
	v_cndmask_b32_e32 v9, v12, v11, vcc
	v_add_f32_e32 v9, 1.0, v9
	v_rcp_f32_e32 v9, v9
	v_fma_f32 v9, v9, -2.0, 1.0
.LBB4_191:
	s_andn2_saveexec_b64 s[0:1], s[0:1]
; %bb.192:
	v_mul_f32_e32 v9, v8, v8
	v_mov_b32_e32 v11, 0x3ca908c9
	v_fmac_f32_e32 v11, 0xbbbac73d, v9
	v_mov_b32_e32 v12, 0xbd5c1c4e
	v_fmac_f32_e32 v12, v9, v11
	v_mov_b32_e32 v11, 0x3e088382
	v_fmac_f32_e32 v11, v9, v12
	v_mov_b32_e32 v12, 0xbeaaaa99
	v_fmac_f32_e32 v12, v9, v11
	v_mul_f32_e64 v11, |v8|, v12
	v_fma_f32 v9, v9, v11, |v8|
; %bb.193:
	s_or_b64 exec, exec, s[0:1]
	global_load_dword v11, v[6:7], off offset:28
	s_brev_b32 s0, -2
	v_bfi_b32 v6, s0, v9, v8
	s_mov_b32 s0, 0x3f200000
	global_store_dword v[4:5], v6, off offset:24
                                        ; implicit-def: $vgpr13
	s_waitcnt vmcnt(1)
	v_cmp_nlt_f32_e64 s[0:1], |v11|, s0
	s_and_saveexec_b64 s[8:9], s[0:1]
	s_xor_b64 s[0:1], exec, s[8:9]
	s_cbranch_execz .LBB4_195
; %bb.194:
	v_add_f32_e64 v6, |v11|, |v11|
	v_mul_f32_e32 v7, 0x3fb8aa3b, v6
	s_mov_b32 s8, 0x3fb8aa3b
	v_rndne_f32_e32 v8, v7
	v_sub_f32_e32 v9, v7, v8
	v_fma_f32 v7, v6, s8, -v7
	v_fmac_f32_e32 v7, 0x32a5705f, v6
	v_add_f32_e32 v7, v9, v7
	v_exp_f32_e32 v7, v7
	v_cvt_i32_f32_e32 v8, v8
	s_mov_b32 s8, 0xc2ce8ed0
	v_cmp_ngt_f32_e32 vcc, s8, v6
	s_mov_b32 s8, 0x42b17218
	v_ldexp_f32 v7, v7, v8
	v_cndmask_b32_e32 v7, 0, v7, vcc
	v_mov_b32_e32 v8, 0x7f800000
	v_cmp_nlt_f32_e32 vcc, s8, v6
	v_cndmask_b32_e32 v6, v8, v7, vcc
	v_add_f32_e32 v6, 1.0, v6
	v_rcp_f32_e32 v6, v6
	v_fma_f32 v13, v6, -2.0, 1.0
.LBB4_195:
	s_andn2_saveexec_b64 s[0:1], s[0:1]
; %bb.196:
	v_mul_f32_e32 v6, v11, v11
	v_mov_b32_e32 v7, 0x3ca908c9
	v_fmac_f32_e32 v7, 0xbbbac73d, v6
	v_mov_b32_e32 v8, 0xbd5c1c4e
	v_fmac_f32_e32 v8, v6, v7
	;; [unrolled: 2-line block ×4, first 2 shown]
	v_mul_f32_e64 v7, |v11|, v8
	v_fma_f32 v13, v6, v7, |v11|
; %bb.197:
	s_or_b64 exec, exec, s[0:1]
	v_add_u32_e32 v10, s10, v10
	v_add_co_u32_e32 v6, vcc, v2, v10
	v_addc_co_u32_e32 v7, vcc, 0, v3, vcc
	v_mul_lo_u32 v8, v6, s3
	v_mul_lo_u32 v9, v7, s2
	v_mad_u64_u32 v[6:7], s[0:1], v6, s2, v[0:1]
	v_add3_u32 v7, v9, v7, v8
	v_lshlrev_b64 v[8:9], 2, v[6:7]
	v_mov_b32_e32 v7, s7
	v_add_co_u32_e32 v6, vcc, s6, v8
	v_addc_co_u32_e32 v7, vcc, v7, v9, vcc
	global_load_dword v12, v[6:7], off
	s_brev_b32 s0, -2
	v_bfi_b32 v11, s0, v13, v11
	s_mov_b32 s0, 0x3f200000
	global_store_dword v[4:5], v11, off offset:28
                                        ; implicit-def: $vgpr13
	s_waitcnt vmcnt(1)
	v_cmp_nlt_f32_e64 s[0:1], |v12|, s0
	s_and_saveexec_b64 s[8:9], s[0:1]
	s_xor_b64 s[0:1], exec, s[8:9]
	s_cbranch_execz .LBB4_199
; %bb.198:
	v_add_f32_e64 v4, |v12|, |v12|
	v_mul_f32_e32 v5, 0x3fb8aa3b, v4
	s_mov_b32 s8, 0x3fb8aa3b
	v_rndne_f32_e32 v11, v5
	v_sub_f32_e32 v13, v5, v11
	v_fma_f32 v5, v4, s8, -v5
	v_fmac_f32_e32 v5, 0x32a5705f, v4
	v_add_f32_e32 v5, v13, v5
	v_exp_f32_e32 v5, v5
	v_cvt_i32_f32_e32 v11, v11
	s_mov_b32 s8, 0xc2ce8ed0
	v_cmp_ngt_f32_e32 vcc, s8, v4
	s_mov_b32 s8, 0x42b17218
	v_ldexp_f32 v5, v5, v11
	v_cndmask_b32_e32 v5, 0, v5, vcc
	v_mov_b32_e32 v11, 0x7f800000
	v_cmp_nlt_f32_e32 vcc, s8, v4
	v_cndmask_b32_e32 v4, v11, v5, vcc
	v_add_f32_e32 v4, 1.0, v4
	v_rcp_f32_e32 v4, v4
	v_fma_f32 v13, v4, -2.0, 1.0
.LBB4_199:
	s_andn2_saveexec_b64 s[0:1], s[0:1]
; %bb.200:
	v_mul_f32_e32 v4, v12, v12
	v_mov_b32_e32 v5, 0x3ca908c9
	v_fmac_f32_e32 v5, 0xbbbac73d, v4
	v_mov_b32_e32 v11, 0xbd5c1c4e
	v_fmac_f32_e32 v11, v4, v5
	v_mov_b32_e32 v5, 0x3e088382
	v_fmac_f32_e32 v5, v4, v11
	v_mov_b32_e32 v11, 0xbeaaaa99
	v_fmac_f32_e32 v11, v4, v5
	v_mul_f32_e64 v5, |v12|, v11
	v_fma_f32 v13, v4, v5, |v12|
; %bb.201:
	s_or_b64 exec, exec, s[0:1]
	global_load_dword v11, v[6:7], off offset:4
	s_brev_b32 s0, -2
	v_mov_b32_e32 v5, s5
	v_add_co_u32_e32 v4, vcc, s4, v8
	v_bfi_b32 v8, s0, v13, v12
	s_mov_b32 s0, 0x3f200000
	v_addc_co_u32_e32 v5, vcc, v5, v9, vcc
	global_store_dword v[4:5], v8, off
                                        ; implicit-def: $vgpr9
	s_waitcnt vmcnt(1)
	v_cmp_nlt_f32_e64 s[0:1], |v11|, s0
	s_and_saveexec_b64 s[8:9], s[0:1]
	s_xor_b64 s[0:1], exec, s[8:9]
	s_cbranch_execz .LBB4_203
; %bb.202:
	v_add_f32_e64 v8, |v11|, |v11|
	v_mul_f32_e32 v9, 0x3fb8aa3b, v8
	s_mov_b32 s8, 0x3fb8aa3b
	v_rndne_f32_e32 v12, v9
	v_sub_f32_e32 v13, v9, v12
	v_fma_f32 v9, v8, s8, -v9
	v_fmac_f32_e32 v9, 0x32a5705f, v8
	v_add_f32_e32 v9, v13, v9
	v_exp_f32_e32 v9, v9
	v_cvt_i32_f32_e32 v12, v12
	s_mov_b32 s8, 0xc2ce8ed0
	v_cmp_ngt_f32_e32 vcc, s8, v8
	s_mov_b32 s8, 0x42b17218
	v_ldexp_f32 v9, v9, v12
	v_cndmask_b32_e32 v9, 0, v9, vcc
	v_mov_b32_e32 v12, 0x7f800000
	v_cmp_nlt_f32_e32 vcc, s8, v8
	v_cndmask_b32_e32 v8, v12, v9, vcc
	v_add_f32_e32 v8, 1.0, v8
	v_rcp_f32_e32 v8, v8
	v_fma_f32 v9, v8, -2.0, 1.0
.LBB4_203:
	s_andn2_saveexec_b64 s[0:1], s[0:1]
; %bb.204:
	v_mul_f32_e32 v8, v11, v11
	v_mov_b32_e32 v9, 0x3ca908c9
	v_fmac_f32_e32 v9, 0xbbbac73d, v8
	v_mov_b32_e32 v12, 0xbd5c1c4e
	v_fmac_f32_e32 v12, v8, v9
	v_mov_b32_e32 v9, 0x3e088382
	v_fmac_f32_e32 v9, v8, v12
	v_mov_b32_e32 v12, 0xbeaaaa99
	v_fmac_f32_e32 v12, v8, v9
	v_mul_f32_e64 v9, |v11|, v12
	v_fma_f32 v9, v8, v9, |v11|
; %bb.205:
	s_or_b64 exec, exec, s[0:1]
	global_load_dword v8, v[6:7], off offset:8
	s_brev_b32 s0, -2
	v_bfi_b32 v9, s0, v9, v11
	s_mov_b32 s0, 0x3f200000
	global_store_dword v[4:5], v9, off offset:4
                                        ; implicit-def: $vgpr11
	s_waitcnt vmcnt(1)
	v_cmp_nlt_f32_e64 s[0:1], |v8|, s0
	s_and_saveexec_b64 s[8:9], s[0:1]
	s_xor_b64 s[0:1], exec, s[8:9]
	s_cbranch_execz .LBB4_207
; %bb.206:
	v_add_f32_e64 v9, |v8|, |v8|
	v_mul_f32_e32 v11, 0x3fb8aa3b, v9
	s_mov_b32 s8, 0x3fb8aa3b
	v_rndne_f32_e32 v12, v11
	v_sub_f32_e32 v13, v11, v12
	v_fma_f32 v11, v9, s8, -v11
	v_fmac_f32_e32 v11, 0x32a5705f, v9
	v_add_f32_e32 v11, v13, v11
	v_exp_f32_e32 v11, v11
	v_cvt_i32_f32_e32 v12, v12
	s_mov_b32 s8, 0xc2ce8ed0
	v_cmp_ngt_f32_e32 vcc, s8, v9
	s_mov_b32 s8, 0x42b17218
	v_ldexp_f32 v11, v11, v12
	v_cndmask_b32_e32 v11, 0, v11, vcc
	v_mov_b32_e32 v12, 0x7f800000
	v_cmp_nlt_f32_e32 vcc, s8, v9
	v_cndmask_b32_e32 v9, v12, v11, vcc
	v_add_f32_e32 v9, 1.0, v9
	v_rcp_f32_e32 v9, v9
	v_fma_f32 v11, v9, -2.0, 1.0
.LBB4_207:
	s_andn2_saveexec_b64 s[0:1], s[0:1]
; %bb.208:
	v_mul_f32_e32 v9, v8, v8
	v_mov_b32_e32 v11, 0x3ca908c9
	v_fmac_f32_e32 v11, 0xbbbac73d, v9
	v_mov_b32_e32 v12, 0xbd5c1c4e
	v_fmac_f32_e32 v12, v9, v11
	v_mov_b32_e32 v11, 0x3e088382
	v_fmac_f32_e32 v11, v9, v12
	v_mov_b32_e32 v12, 0xbeaaaa99
	v_fmac_f32_e32 v12, v9, v11
	v_mul_f32_e64 v11, |v8|, v12
	v_fma_f32 v11, v9, v11, |v8|
; %bb.209:
	s_or_b64 exec, exec, s[0:1]
	global_load_dword v9, v[6:7], off offset:12
	s_brev_b32 s0, -2
	v_bfi_b32 v8, s0, v11, v8
	s_mov_b32 s0, 0x3f200000
	global_store_dword v[4:5], v8, off offset:8
                                        ; implicit-def: $vgpr11
	;; [unrolled: 49-line block ×4, first 2 shown]
	s_waitcnt vmcnt(1)
	v_cmp_nlt_f32_e64 s[0:1], |v9|, s0
	s_and_saveexec_b64 s[8:9], s[0:1]
	s_xor_b64 s[0:1], exec, s[8:9]
	s_cbranch_execz .LBB4_219
; %bb.218:
	v_add_f32_e64 v8, |v9|, |v9|
	v_mul_f32_e32 v11, 0x3fb8aa3b, v8
	s_mov_b32 s8, 0x3fb8aa3b
	v_rndne_f32_e32 v12, v11
	v_sub_f32_e32 v13, v11, v12
	v_fma_f32 v11, v8, s8, -v11
	v_fmac_f32_e32 v11, 0x32a5705f, v8
	v_add_f32_e32 v11, v13, v11
	v_exp_f32_e32 v11, v11
	v_cvt_i32_f32_e32 v12, v12
	s_mov_b32 s8, 0xc2ce8ed0
	v_cmp_ngt_f32_e32 vcc, s8, v8
	s_mov_b32 s8, 0x42b17218
	v_ldexp_f32 v11, v11, v12
	v_cndmask_b32_e32 v11, 0, v11, vcc
	v_mov_b32_e32 v12, 0x7f800000
	v_cmp_nlt_f32_e32 vcc, s8, v8
	v_cndmask_b32_e32 v8, v12, v11, vcc
	v_add_f32_e32 v8, 1.0, v8
	v_rcp_f32_e32 v8, v8
	v_fma_f32 v11, v8, -2.0, 1.0
.LBB4_219:
	s_andn2_saveexec_b64 s[0:1], s[0:1]
; %bb.220:
	v_mul_f32_e32 v8, v9, v9
	v_mov_b32_e32 v11, 0x3ca908c9
	v_fmac_f32_e32 v11, 0xbbbac73d, v8
	v_mov_b32_e32 v12, 0xbd5c1c4e
	v_fmac_f32_e32 v12, v8, v11
	;; [unrolled: 2-line block ×4, first 2 shown]
	v_mul_f32_e64 v11, |v9|, v12
	v_fma_f32 v11, v8, v11, |v9|
; %bb.221:
	s_or_b64 exec, exec, s[0:1]
	global_load_dword v8, v[6:7], off offset:24
	s_brev_b32 s0, -2
	v_bfi_b32 v9, s0, v11, v9
	s_mov_b32 s0, 0x3f200000
	global_store_dword v[4:5], v9, off offset:20
                                        ; implicit-def: $vgpr9
	s_waitcnt vmcnt(1)
	v_cmp_nlt_f32_e64 s[0:1], |v8|, s0
	s_and_saveexec_b64 s[8:9], s[0:1]
	s_xor_b64 s[0:1], exec, s[8:9]
	s_cbranch_execz .LBB4_223
; %bb.222:
	v_add_f32_e64 v9, |v8|, |v8|
	v_mul_f32_e32 v11, 0x3fb8aa3b, v9
	s_mov_b32 s8, 0x3fb8aa3b
	v_rndne_f32_e32 v12, v11
	v_sub_f32_e32 v13, v11, v12
	v_fma_f32 v11, v9, s8, -v11
	v_fmac_f32_e32 v11, 0x32a5705f, v9
	v_add_f32_e32 v11, v13, v11
	v_exp_f32_e32 v11, v11
	v_cvt_i32_f32_e32 v12, v12
	s_mov_b32 s8, 0xc2ce8ed0
	v_cmp_ngt_f32_e32 vcc, s8, v9
	s_mov_b32 s8, 0x42b17218
	v_ldexp_f32 v11, v11, v12
	v_cndmask_b32_e32 v11, 0, v11, vcc
	v_mov_b32_e32 v12, 0x7f800000
	v_cmp_nlt_f32_e32 vcc, s8, v9
	v_cndmask_b32_e32 v9, v12, v11, vcc
	v_add_f32_e32 v9, 1.0, v9
	v_rcp_f32_e32 v9, v9
	v_fma_f32 v9, v9, -2.0, 1.0
.LBB4_223:
	s_andn2_saveexec_b64 s[0:1], s[0:1]
; %bb.224:
	v_mul_f32_e32 v9, v8, v8
	v_mov_b32_e32 v11, 0x3ca908c9
	v_fmac_f32_e32 v11, 0xbbbac73d, v9
	v_mov_b32_e32 v12, 0xbd5c1c4e
	v_fmac_f32_e32 v12, v9, v11
	;; [unrolled: 2-line block ×4, first 2 shown]
	v_mul_f32_e64 v11, |v8|, v12
	v_fma_f32 v9, v9, v11, |v8|
; %bb.225:
	s_or_b64 exec, exec, s[0:1]
	global_load_dword v6, v[6:7], off offset:28
	s_brev_b32 s0, -2
	v_bfi_b32 v7, s0, v9, v8
	s_mov_b32 s0, 0x3f200000
	global_store_dword v[4:5], v7, off offset:24
                                        ; implicit-def: $vgpr8
	s_waitcnt vmcnt(1)
	v_cmp_nlt_f32_e64 s[0:1], |v6|, s0
	s_and_saveexec_b64 s[8:9], s[0:1]
	s_xor_b64 s[0:1], exec, s[8:9]
	s_cbranch_execz .LBB4_227
; %bb.226:
	v_add_f32_e64 v7, |v6|, |v6|
	v_mul_f32_e32 v8, 0x3fb8aa3b, v7
	s_mov_b32 s8, 0x3fb8aa3b
	v_rndne_f32_e32 v9, v8
	v_sub_f32_e32 v11, v8, v9
	v_fma_f32 v8, v7, s8, -v8
	v_fmac_f32_e32 v8, 0x32a5705f, v7
	v_add_f32_e32 v8, v11, v8
	v_exp_f32_e32 v8, v8
	v_cvt_i32_f32_e32 v9, v9
	s_mov_b32 s8, 0xc2ce8ed0
	v_cmp_ngt_f32_e32 vcc, s8, v7
	s_mov_b32 s8, 0x42b17218
	v_ldexp_f32 v8, v8, v9
	v_cndmask_b32_e32 v8, 0, v8, vcc
	v_mov_b32_e32 v9, 0x7f800000
	v_cmp_nlt_f32_e32 vcc, s8, v7
	v_cndmask_b32_e32 v7, v9, v8, vcc
	v_add_f32_e32 v7, 1.0, v7
	v_rcp_f32_e32 v7, v7
	v_fma_f32 v8, v7, -2.0, 1.0
.LBB4_227:
	s_andn2_saveexec_b64 s[0:1], s[0:1]
; %bb.228:
	v_mul_f32_e32 v7, v6, v6
	v_mov_b32_e32 v8, 0x3ca908c9
	v_fmac_f32_e32 v8, 0xbbbac73d, v7
	v_mov_b32_e32 v9, 0xbd5c1c4e
	v_fmac_f32_e32 v9, v7, v8
	;; [unrolled: 2-line block ×4, first 2 shown]
	v_mul_f32_e64 v8, |v6|, v9
	v_fma_f32 v8, v7, v8, |v6|
; %bb.229:
	s_or_b64 exec, exec, s[0:1]
	v_add_u32_e32 v7, s10, v10
	v_add_co_u32_e32 v2, vcc, v2, v7
	v_addc_co_u32_e32 v3, vcc, 0, v3, vcc
	v_mul_lo_u32 v7, v2, s3
	v_mul_lo_u32 v3, v3, s2
	v_mad_u64_u32 v[0:1], s[0:1], v2, s2, v[0:1]
	v_add3_u32 v1, v3, v1, v7
	v_lshlrev_b64 v[2:3], 2, v[0:1]
	v_mov_b32_e32 v1, s7
	v_add_co_u32_e32 v0, vcc, s6, v2
	v_addc_co_u32_e32 v1, vcc, v1, v3, vcc
	global_load_dword v7, v[0:1], off
	s_brev_b32 s0, -2
	v_bfi_b32 v6, s0, v8, v6
	s_mov_b32 s0, 0x3f200000
	global_store_dword v[4:5], v6, off offset:28
                                        ; implicit-def: $vgpr5
	s_waitcnt vmcnt(1)
	v_cmp_nlt_f32_e64 s[0:1], |v7|, s0
	s_and_saveexec_b64 s[2:3], s[0:1]
	s_xor_b64 s[0:1], exec, s[2:3]
	s_cbranch_execz .LBB4_231
; %bb.230:
	v_add_f32_e64 v4, |v7|, |v7|
	v_mul_f32_e32 v5, 0x3fb8aa3b, v4
	s_mov_b32 s2, 0x3fb8aa3b
	v_rndne_f32_e32 v6, v5
	v_sub_f32_e32 v8, v5, v6
	v_fma_f32 v5, v4, s2, -v5
	v_fmac_f32_e32 v5, 0x32a5705f, v4
	v_add_f32_e32 v5, v8, v5
	v_exp_f32_e32 v5, v5
	v_cvt_i32_f32_e32 v6, v6
	s_mov_b32 s2, 0xc2ce8ed0
	v_cmp_ngt_f32_e32 vcc, s2, v4
	s_mov_b32 s2, 0x42b17218
	v_ldexp_f32 v5, v5, v6
	v_cndmask_b32_e32 v5, 0, v5, vcc
	v_mov_b32_e32 v6, 0x7f800000
	v_cmp_nlt_f32_e32 vcc, s2, v4
	v_cndmask_b32_e32 v4, v6, v5, vcc
	v_add_f32_e32 v4, 1.0, v4
	v_rcp_f32_e32 v4, v4
	v_fma_f32 v5, v4, -2.0, 1.0
.LBB4_231:
	s_andn2_saveexec_b64 s[0:1], s[0:1]
; %bb.232:
	v_mul_f32_e32 v4, v7, v7
	v_mov_b32_e32 v5, 0x3ca908c9
	v_fmac_f32_e32 v5, 0xbbbac73d, v4
	v_mov_b32_e32 v6, 0xbd5c1c4e
	v_fmac_f32_e32 v6, v4, v5
	;; [unrolled: 2-line block ×4, first 2 shown]
	v_mul_f32_e64 v5, |v7|, v6
	v_fma_f32 v5, v4, v5, |v7|
; %bb.233:
	s_or_b64 exec, exec, s[0:1]
	global_load_dword v4, v[0:1], off offset:4
	s_brev_b32 s0, -2
	v_mov_b32_e32 v6, s5
	v_add_co_u32_e32 v2, vcc, s4, v2
	v_bfi_b32 v5, s0, v5, v7
	s_mov_b32 s0, 0x3f200000
	v_addc_co_u32_e32 v3, vcc, v6, v3, vcc
	global_store_dword v[2:3], v5, off
                                        ; implicit-def: $vgpr6
	s_waitcnt vmcnt(1)
	v_cmp_nlt_f32_e64 s[0:1], |v4|, s0
	s_and_saveexec_b64 s[2:3], s[0:1]
	s_xor_b64 s[0:1], exec, s[2:3]
	s_cbranch_execz .LBB4_235
; %bb.234:
	v_add_f32_e64 v5, |v4|, |v4|
	v_mul_f32_e32 v6, 0x3fb8aa3b, v5
	s_mov_b32 s2, 0x3fb8aa3b
	v_rndne_f32_e32 v7, v6
	v_sub_f32_e32 v8, v6, v7
	v_fma_f32 v6, v5, s2, -v6
	v_fmac_f32_e32 v6, 0x32a5705f, v5
	v_add_f32_e32 v6, v8, v6
	v_exp_f32_e32 v6, v6
	v_cvt_i32_f32_e32 v7, v7
	s_mov_b32 s2, 0xc2ce8ed0
	v_cmp_ngt_f32_e32 vcc, s2, v5
	s_mov_b32 s2, 0x42b17218
	v_ldexp_f32 v6, v6, v7
	v_cndmask_b32_e32 v6, 0, v6, vcc
	v_mov_b32_e32 v7, 0x7f800000
	v_cmp_nlt_f32_e32 vcc, s2, v5
	v_cndmask_b32_e32 v5, v7, v6, vcc
	v_add_f32_e32 v5, 1.0, v5
	v_rcp_f32_e32 v5, v5
	v_fma_f32 v6, v5, -2.0, 1.0
.LBB4_235:
	s_andn2_saveexec_b64 s[0:1], s[0:1]
; %bb.236:
	v_mul_f32_e32 v5, v4, v4
	v_mov_b32_e32 v6, 0x3ca908c9
	v_fmac_f32_e32 v6, 0xbbbac73d, v5
	v_mov_b32_e32 v7, 0xbd5c1c4e
	v_fmac_f32_e32 v7, v5, v6
	v_mov_b32_e32 v6, 0x3e088382
	v_fmac_f32_e32 v6, v5, v7
	v_mov_b32_e32 v7, 0xbeaaaa99
	v_fmac_f32_e32 v7, v5, v6
	v_mul_f32_e64 v6, |v4|, v7
	v_fma_f32 v6, v5, v6, |v4|
; %bb.237:
	s_or_b64 exec, exec, s[0:1]
	global_load_dword v5, v[0:1], off offset:8
	s_brev_b32 s0, -2
	v_bfi_b32 v4, s0, v6, v4
	s_mov_b32 s0, 0x3f200000
	global_store_dword v[2:3], v4, off offset:4
                                        ; implicit-def: $vgpr6
	s_waitcnt vmcnt(1)
	v_cmp_nlt_f32_e64 s[0:1], |v5|, s0
	s_and_saveexec_b64 s[2:3], s[0:1]
	s_xor_b64 s[0:1], exec, s[2:3]
	s_cbranch_execz .LBB4_239
; %bb.238:
	v_add_f32_e64 v4, |v5|, |v5|
	v_mul_f32_e32 v6, 0x3fb8aa3b, v4
	s_mov_b32 s2, 0x3fb8aa3b
	v_rndne_f32_e32 v7, v6
	v_sub_f32_e32 v8, v6, v7
	v_fma_f32 v6, v4, s2, -v6
	v_fmac_f32_e32 v6, 0x32a5705f, v4
	v_add_f32_e32 v6, v8, v6
	v_exp_f32_e32 v6, v6
	v_cvt_i32_f32_e32 v7, v7
	s_mov_b32 s2, 0xc2ce8ed0
	v_cmp_ngt_f32_e32 vcc, s2, v4
	s_mov_b32 s2, 0x42b17218
	v_ldexp_f32 v6, v6, v7
	v_cndmask_b32_e32 v6, 0, v6, vcc
	v_mov_b32_e32 v7, 0x7f800000
	v_cmp_nlt_f32_e32 vcc, s2, v4
	v_cndmask_b32_e32 v4, v7, v6, vcc
	v_add_f32_e32 v4, 1.0, v4
	v_rcp_f32_e32 v4, v4
	v_fma_f32 v6, v4, -2.0, 1.0
.LBB4_239:
	s_andn2_saveexec_b64 s[0:1], s[0:1]
; %bb.240:
	v_mul_f32_e32 v4, v5, v5
	v_mov_b32_e32 v6, 0x3ca908c9
	v_fmac_f32_e32 v6, 0xbbbac73d, v4
	v_mov_b32_e32 v7, 0xbd5c1c4e
	v_fmac_f32_e32 v7, v4, v6
	v_mov_b32_e32 v6, 0x3e088382
	v_fmac_f32_e32 v6, v4, v7
	v_mov_b32_e32 v7, 0xbeaaaa99
	v_fmac_f32_e32 v7, v4, v6
	v_mul_f32_e64 v6, |v5|, v7
	v_fma_f32 v6, v4, v6, |v5|
; %bb.241:
	s_or_b64 exec, exec, s[0:1]
	global_load_dword v4, v[0:1], off offset:12
	s_brev_b32 s0, -2
	v_bfi_b32 v5, s0, v6, v5
	s_mov_b32 s0, 0x3f200000
	global_store_dword v[2:3], v5, off offset:8
	;; [unrolled: 49-line block ×5, first 2 shown]
                                        ; implicit-def: $vgpr4
	s_waitcnt vmcnt(1)
	v_cmp_nlt_f32_e64 s[0:1], |v5|, s0
	s_and_saveexec_b64 s[2:3], s[0:1]
	s_xor_b64 s[0:1], exec, s[2:3]
	s_cbranch_execz .LBB4_255
; %bb.254:
	v_add_f32_e64 v4, |v5|, |v5|
	v_mul_f32_e32 v6, 0x3fb8aa3b, v4
	s_mov_b32 s2, 0x3fb8aa3b
	v_rndne_f32_e32 v7, v6
	v_sub_f32_e32 v8, v6, v7
	v_fma_f32 v6, v4, s2, -v6
	v_fmac_f32_e32 v6, 0x32a5705f, v4
	v_add_f32_e32 v6, v8, v6
	v_exp_f32_e32 v6, v6
	v_cvt_i32_f32_e32 v7, v7
	s_mov_b32 s2, 0xc2ce8ed0
	v_cmp_ngt_f32_e32 vcc, s2, v4
	s_mov_b32 s2, 0x42b17218
	v_ldexp_f32 v6, v6, v7
	v_cndmask_b32_e32 v6, 0, v6, vcc
	v_mov_b32_e32 v7, 0x7f800000
	v_cmp_nlt_f32_e32 vcc, s2, v4
	v_cndmask_b32_e32 v4, v7, v6, vcc
	v_add_f32_e32 v4, 1.0, v4
	v_rcp_f32_e32 v4, v4
	v_fma_f32 v4, v4, -2.0, 1.0
.LBB4_255:
	s_andn2_saveexec_b64 s[0:1], s[0:1]
; %bb.256:
	v_mul_f32_e32 v4, v5, v5
	v_mov_b32_e32 v6, 0x3ca908c9
	v_fmac_f32_e32 v6, 0xbbbac73d, v4
	v_mov_b32_e32 v7, 0xbd5c1c4e
	v_fmac_f32_e32 v7, v4, v6
	;; [unrolled: 2-line block ×4, first 2 shown]
	v_mul_f32_e64 v6, |v5|, v7
	v_fma_f32 v4, v4, v6, |v5|
; %bb.257:
	s_or_b64 exec, exec, s[0:1]
	global_load_dword v0, v[0:1], off offset:28
	s_brev_b32 s0, -2
	v_bfi_b32 v1, s0, v4, v5
	s_mov_b32 s0, 0x3f200000
	global_store_dword v[2:3], v1, off offset:24
                                        ; implicit-def: $vgpr1
	s_waitcnt vmcnt(1)
	v_cmp_nlt_f32_e64 s[0:1], |v0|, s0
	s_and_saveexec_b64 s[2:3], s[0:1]
	s_xor_b64 s[0:1], exec, s[2:3]
	s_cbranch_execz .LBB4_259
; %bb.258:
	v_add_f32_e64 v1, |v0|, |v0|
	v_mul_f32_e32 v4, 0x3fb8aa3b, v1
	s_mov_b32 s2, 0x3fb8aa3b
	v_rndne_f32_e32 v5, v4
	v_sub_f32_e32 v6, v4, v5
	v_fma_f32 v4, v1, s2, -v4
	v_fmac_f32_e32 v4, 0x32a5705f, v1
	v_add_f32_e32 v4, v6, v4
	v_exp_f32_e32 v4, v4
	v_cvt_i32_f32_e32 v5, v5
	s_mov_b32 s2, 0xc2ce8ed0
	v_cmp_ngt_f32_e32 vcc, s2, v1
	s_mov_b32 s2, 0x42b17218
	v_ldexp_f32 v4, v4, v5
	v_cndmask_b32_e32 v4, 0, v4, vcc
	v_mov_b32_e32 v5, 0x7f800000
	v_cmp_nlt_f32_e32 vcc, s2, v1
	v_cndmask_b32_e32 v1, v5, v4, vcc
	v_add_f32_e32 v1, 1.0, v1
	v_rcp_f32_e32 v1, v1
	v_fma_f32 v1, v1, -2.0, 1.0
.LBB4_259:
	s_andn2_saveexec_b64 s[0:1], s[0:1]
; %bb.260:
	v_mul_f32_e32 v1, v0, v0
	v_mov_b32_e32 v4, 0x3ca908c9
	v_fmac_f32_e32 v4, 0xbbbac73d, v1
	v_mov_b32_e32 v5, 0xbd5c1c4e
	v_fmac_f32_e32 v5, v1, v4
	;; [unrolled: 2-line block ×4, first 2 shown]
	v_mul_f32_e64 v4, |v0|, v5
	v_fma_f32 v1, v1, v4, |v0|
; %bb.261:
	s_or_b64 exec, exec, s[0:1]
	s_brev_b32 s0, -2
	v_bfi_b32 v0, s0, v1, v0
	global_store_dword v[2:3], v0, off offset:28
.LBB4_262:
	s_endpgm
	.section	.rodata,"a",@progbits
	.p2align	6, 0x0
	.amdhsa_kernel _ZN5aiter26unary_operator_tile_kernelIfLi8ELi8ENS_6TanhOpEEEvPKvPviii
		.amdhsa_group_segment_fixed_size 0
		.amdhsa_private_segment_fixed_size 0
		.amdhsa_kernarg_size 288
		.amdhsa_user_sgpr_count 6
		.amdhsa_user_sgpr_private_segment_buffer 1
		.amdhsa_user_sgpr_dispatch_ptr 0
		.amdhsa_user_sgpr_queue_ptr 0
		.amdhsa_user_sgpr_kernarg_segment_ptr 1
		.amdhsa_user_sgpr_dispatch_id 0
		.amdhsa_user_sgpr_flat_scratch_init 0
		.amdhsa_user_sgpr_kernarg_preload_length 0
		.amdhsa_user_sgpr_kernarg_preload_offset 0
		.amdhsa_user_sgpr_private_segment_size 0
		.amdhsa_uses_dynamic_stack 0
		.amdhsa_system_sgpr_private_segment_wavefront_offset 0
		.amdhsa_system_sgpr_workgroup_id_x 1
		.amdhsa_system_sgpr_workgroup_id_y 0
		.amdhsa_system_sgpr_workgroup_id_z 0
		.amdhsa_system_sgpr_workgroup_info 0
		.amdhsa_system_vgpr_workitem_id 0
		.amdhsa_next_free_vgpr 15
		.amdhsa_next_free_sgpr 16
		.amdhsa_accum_offset 16
		.amdhsa_reserve_vcc 1
		.amdhsa_reserve_flat_scratch 0
		.amdhsa_float_round_mode_32 0
		.amdhsa_float_round_mode_16_64 0
		.amdhsa_float_denorm_mode_32 3
		.amdhsa_float_denorm_mode_16_64 3
		.amdhsa_dx10_clamp 1
		.amdhsa_ieee_mode 1
		.amdhsa_fp16_overflow 0
		.amdhsa_tg_split 0
		.amdhsa_exception_fp_ieee_invalid_op 0
		.amdhsa_exception_fp_denorm_src 0
		.amdhsa_exception_fp_ieee_div_zero 0
		.amdhsa_exception_fp_ieee_overflow 0
		.amdhsa_exception_fp_ieee_underflow 0
		.amdhsa_exception_fp_ieee_inexact 0
		.amdhsa_exception_int_div_zero 0
	.end_amdhsa_kernel
	.section	.text._ZN5aiter26unary_operator_tile_kernelIfLi8ELi8ENS_6TanhOpEEEvPKvPviii,"axG",@progbits,_ZN5aiter26unary_operator_tile_kernelIfLi8ELi8ENS_6TanhOpEEEvPKvPviii,comdat
.Lfunc_end4:
	.size	_ZN5aiter26unary_operator_tile_kernelIfLi8ELi8ENS_6TanhOpEEEvPKvPviii, .Lfunc_end4-_ZN5aiter26unary_operator_tile_kernelIfLi8ELi8ENS_6TanhOpEEEvPKvPviii
                                        ; -- End function
	.section	.AMDGPU.csdata,"",@progbits
; Kernel info:
; codeLenInByte = 18520
; NumSgprs: 20
; NumVgprs: 15
; NumAgprs: 0
; TotalNumVgprs: 15
; ScratchSize: 0
; MemoryBound: 0
; FloatMode: 240
; IeeeMode: 1
; LDSByteSize: 0 bytes/workgroup (compile time only)
; SGPRBlocks: 2
; VGPRBlocks: 1
; NumSGPRsForWavesPerEU: 20
; NumVGPRsForWavesPerEU: 15
; AccumOffset: 16
; Occupancy: 8
; WaveLimiterHint : 0
; COMPUTE_PGM_RSRC2:SCRATCH_EN: 0
; COMPUTE_PGM_RSRC2:USER_SGPR: 6
; COMPUTE_PGM_RSRC2:TRAP_HANDLER: 0
; COMPUTE_PGM_RSRC2:TGID_X_EN: 1
; COMPUTE_PGM_RSRC2:TGID_Y_EN: 0
; COMPUTE_PGM_RSRC2:TGID_Z_EN: 0
; COMPUTE_PGM_RSRC2:TIDIG_COMP_CNT: 0
; COMPUTE_PGM_RSRC3_GFX90A:ACCUM_OFFSET: 3
; COMPUTE_PGM_RSRC3_GFX90A:TG_SPLIT: 0
	.section	.text._ZN5aiter26unary_operator_tile_kernelIN3c104HalfELi8ELi8ENS_6TanhOpEEEvPKvPviii,"axG",@progbits,_ZN5aiter26unary_operator_tile_kernelIN3c104HalfELi8ELi8ENS_6TanhOpEEEvPKvPviii,comdat
	.protected	_ZN5aiter26unary_operator_tile_kernelIN3c104HalfELi8ELi8ENS_6TanhOpEEEvPKvPviii ; -- Begin function _ZN5aiter26unary_operator_tile_kernelIN3c104HalfELi8ELi8ENS_6TanhOpEEEvPKvPviii
	.globl	_ZN5aiter26unary_operator_tile_kernelIN3c104HalfELi8ELi8ENS_6TanhOpEEEvPKvPviii
	.p2align	8
	.type	_ZN5aiter26unary_operator_tile_kernelIN3c104HalfELi8ELi8ENS_6TanhOpEEEvPKvPviii,@function
_ZN5aiter26unary_operator_tile_kernelIN3c104HalfELi8ELi8ENS_6TanhOpEEEvPKvPviii: ; @_ZN5aiter26unary_operator_tile_kernelIN3c104HalfELi8ELi8ENS_6TanhOpEEEvPKvPviii
; %bb.0:
	s_load_dword s7, s[4:5], 0x2c
	s_load_dwordx4 s[0:3], s[4:5], 0x10
	v_mov_b32_e32 v2, 0
	v_mov_b32_e32 v1, v2
	;; [unrolled: 1-line block ×3, first 2 shown]
	s_waitcnt lgkmcnt(0)
	s_and_b32 s3, s7, 0xffff
	v_mad_u64_u32 v[0:1], s[6:7], s3, v3, v[0:1]
	s_ashr_i32 s11, s1, 31
	s_ashr_i32 s10, s2, 31
	s_lshr_b32 s3, s11, 29
	s_lshr_b32 s6, s10, 29
	s_add_i32 s3, s1, s3
	s_add_i32 s6, s2, s6
	s_ashr_i32 s3, s3, 3
	s_ashr_i32 s12, s6, 3
	s_ashr_i32 s6, s0, 31
	s_mul_i32 s6, s3, s6
	s_mul_hi_u32 s7, s3, s0
	s_add_i32 s6, s7, s6
	s_mul_i32 s0, s3, s0
	s_mul_hi_u32 s7, s0, s12
	s_mul_i32 s6, s6, s12
	s_add_i32 s7, s7, s6
	s_mul_i32 s6, s0, s12
	v_cmp_gt_u64_e32 vcc, s[6:7], v[0:1]
	s_and_saveexec_b64 s[6:7], vcc
	s_cbranch_execz .LBB5_39
; %bb.1:
	s_load_dwordx4 s[4:7], s[4:5], 0x0
	v_mov_b32_e32 v3, v1
	s_mul_i32 s0, s12, s3
	v_cmp_ne_u64_e32 vcc, 0, v[2:3]
                                        ; implicit-def: $vgpr4_vgpr5
	s_and_saveexec_b64 s[8:9], vcc
	s_xor_b64 s[8:9], exec, s[8:9]
	s_cbranch_execz .LBB5_3
; %bb.2:
	v_cvt_f32_u32_e32 v2, s0
	v_mov_b32_e32 v3, 0x4f800000
	s_sub_u32 s13, 0, s0
	s_subb_u32 s14, 0, 0
	v_mac_f32_e32 v2, 0, v3
	v_rcp_f32_e32 v2, v2
	v_mul_f32_e32 v2, 0x5f7ffffc, v2
	v_mul_f32_e32 v3, 0x2f800000, v2
	v_trunc_f32_e32 v3, v3
	v_madmk_f32 v2, v3, 0xcf800000, v2
	v_cvt_u32_f32_e32 v3, v3
	v_cvt_u32_f32_e32 v2, v2
	v_mul_lo_u32 v4, s13, v3
	v_mul_hi_u32 v6, s13, v2
	v_mul_lo_u32 v5, s14, v2
	v_add_u32_e32 v4, v6, v4
	v_mul_lo_u32 v7, s13, v2
	v_add_u32_e32 v4, v4, v5
	v_mul_hi_u32 v6, v2, v7
	v_mul_lo_u32 v8, v2, v4
	v_mul_hi_u32 v5, v2, v4
	v_add_co_u32_e32 v6, vcc, v6, v8
	v_addc_co_u32_e32 v5, vcc, 0, v5, vcc
	v_mul_hi_u32 v9, v3, v7
	v_mul_lo_u32 v7, v3, v7
	v_add_co_u32_e32 v6, vcc, v6, v7
	v_mul_hi_u32 v8, v3, v4
	v_addc_co_u32_e32 v5, vcc, v5, v9, vcc
	v_addc_co_u32_e32 v6, vcc, 0, v8, vcc
	v_mul_lo_u32 v4, v3, v4
	v_add_co_u32_e32 v4, vcc, v5, v4
	v_addc_co_u32_e32 v5, vcc, 0, v6, vcc
	v_add_co_u32_e32 v2, vcc, v2, v4
	v_addc_co_u32_e32 v3, vcc, v3, v5, vcc
	v_mul_lo_u32 v4, s13, v3
	v_mul_hi_u32 v5, s13, v2
	v_add_u32_e32 v4, v5, v4
	v_mul_lo_u32 v5, s14, v2
	v_add_u32_e32 v4, v4, v5
	v_mul_lo_u32 v6, s13, v2
	v_mul_hi_u32 v7, v3, v6
	v_mul_lo_u32 v8, v3, v6
	v_mul_lo_u32 v10, v2, v4
	v_mul_hi_u32 v6, v2, v6
	v_mul_hi_u32 v9, v2, v4
	v_add_co_u32_e32 v6, vcc, v6, v10
	v_addc_co_u32_e32 v9, vcc, 0, v9, vcc
	v_add_co_u32_e32 v6, vcc, v6, v8
	v_mul_hi_u32 v5, v3, v4
	v_addc_co_u32_e32 v6, vcc, v9, v7, vcc
	v_addc_co_u32_e32 v5, vcc, 0, v5, vcc
	v_mul_lo_u32 v4, v3, v4
	v_add_co_u32_e32 v4, vcc, v6, v4
	v_addc_co_u32_e32 v5, vcc, 0, v5, vcc
	v_add_co_u32_e32 v4, vcc, v2, v4
	v_addc_co_u32_e32 v5, vcc, v3, v5, vcc
	v_mad_u64_u32 v[2:3], s[14:15], v0, v5, 0
	v_mul_hi_u32 v6, v0, v4
	v_add_co_u32_e32 v6, vcc, v6, v2
	v_addc_co_u32_e32 v7, vcc, 0, v3, vcc
	v_mad_u64_u32 v[2:3], s[14:15], v1, v5, 0
	v_mad_u64_u32 v[4:5], s[14:15], v1, v4, 0
	v_add_co_u32_e32 v4, vcc, v6, v4
	v_addc_co_u32_e32 v4, vcc, v7, v5, vcc
	v_addc_co_u32_e32 v3, vcc, 0, v3, vcc
	v_add_co_u32_e32 v6, vcc, v4, v2
	v_addc_co_u32_e32 v5, vcc, 0, v3, vcc
	v_mad_u64_u32 v[2:3], s[14:15], s0, v6, 0
	v_mov_b32_e32 v4, v3
	v_mad_u64_u32 v[4:5], s[14:15], s0, v5, v[4:5]
	v_sub_co_u32_e32 v2, vcc, v0, v2
	v_subb_co_u32_e32 v1, vcc, v1, v4, vcc
	v_subrev_co_u32_e32 v3, vcc, s0, v2
	v_subbrev_co_u32_e32 v4, vcc, 0, v1, vcc
	v_cmp_le_u32_e32 vcc, s0, v3
	v_cndmask_b32_e64 v3, 0, -1, vcc
	v_cmp_eq_u32_e32 vcc, 0, v4
	v_cndmask_b32_e32 v3, -1, v3, vcc
	v_add_co_u32_e32 v4, vcc, 2, v6
	v_add_co_u32_e32 v5, vcc, 1, v6
	v_cmp_le_u32_e32 vcc, s0, v2
	v_cndmask_b32_e64 v2, 0, -1, vcc
	v_cmp_eq_u32_e32 vcc, 0, v1
	v_cndmask_b32_e32 v1, -1, v2, vcc
	v_cmp_ne_u32_e32 vcc, 0, v3
	v_cndmask_b32_e32 v2, v5, v4, vcc
	v_cmp_ne_u32_e32 vcc, 0, v1
	v_cndmask_b32_e32 v4, v6, v2, vcc
.LBB5_3:
	s_andn2_saveexec_b64 s[8:9], s[8:9]
	s_cbranch_execz .LBB5_5
; %bb.4:
	v_cvt_f32_u32_e32 v1, s0
	s_sub_i32 s13, 0, s0
	v_rcp_iflag_f32_e32 v1, v1
	v_mul_f32_e32 v1, 0x4f7ffffe, v1
	v_cvt_u32_f32_e32 v1, v1
	v_mul_lo_u32 v2, s13, v1
	v_mul_hi_u32 v2, v1, v2
	v_add_u32_e32 v1, v1, v2
	v_mul_hi_u32 v1, v0, v1
	v_mul_lo_u32 v2, v1, s0
	v_sub_u32_e32 v2, v0, v2
	v_add_u32_e32 v3, 1, v1
	v_subrev_u32_e32 v4, s0, v2
	v_cmp_le_u32_e32 vcc, s0, v2
	v_cndmask_b32_e32 v2, v2, v4, vcc
	v_cndmask_b32_e32 v1, v1, v3, vcc
	v_add_u32_e32 v3, 1, v1
	v_cmp_le_u32_e32 vcc, s0, v2
	v_cndmask_b32_e32 v4, v1, v3, vcc
.LBB5_5:
	s_or_b64 exec, exec, s[8:9]
	v_cvt_f32_u32_e32 v1, s12
	v_cvt_f32_u32_e32 v3, s3
	v_mul_lo_u32 v2, v4, s0
	s_sub_i32 s0, 0, s12
	v_rcp_iflag_f32_e32 v1, v1
	v_sub_u32_e32 v0, v0, v2
	v_rcp_iflag_f32_e32 v2, v3
	s_mov_b32 s8, 8
	v_mul_f32_e32 v1, 0x4f7ffffe, v1
	v_cvt_u32_f32_e32 v1, v1
	v_mul_f32_e32 v2, 0x4f7ffffe, v2
	v_cvt_u32_f32_e32 v2, v2
	s_waitcnt lgkmcnt(0)
	v_mov_b32_e32 v9, s5
	v_mul_lo_u32 v3, s0, v1
	v_mul_hi_u32 v3, v1, v3
	v_add_u32_e32 v1, v1, v3
	v_mul_hi_u32 v1, v0, v1
	v_mul_lo_u32 v3, v1, s12
	v_sub_u32_e32 v3, v0, v3
	v_add_u32_e32 v5, 1, v1
	v_cmp_le_u32_e32 vcc, s12, v3
	v_cndmask_b32_e32 v1, v1, v5, vcc
	v_subrev_u32_e32 v5, s12, v3
	v_cndmask_b32_e32 v3, v3, v5, vcc
	s_sub_i32 s0, 0, s3
	v_cmp_le_u32_e32 vcc, s12, v3
	v_mul_lo_u32 v3, s0, v2
	v_add_u32_e32 v5, 1, v1
	v_mul_hi_u32 v3, v2, v3
	v_cndmask_b32_e32 v1, v1, v5, vcc
	v_add_u32_e32 v2, v2, v3
	v_mul_hi_u32 v2, v1, v2
	v_mul_lo_u32 v2, v2, s3
	v_sub_u32_e32 v2, v1, v2
	v_subrev_u32_e32 v3, s3, v2
	v_cmp_le_u32_e32 vcc, s3, v2
	v_cndmask_b32_e32 v2, v2, v3, vcc
	v_subrev_u32_e32 v3, s3, v2
	v_cmp_le_u32_e32 vcc, s3, v2
	v_cndmask_b32_e32 v8, v2, v3, vcc
	v_mad_u64_u32 v[2:3], s[0:1], v4, s1, 0
	v_mul_lo_u32 v1, v1, s12
	v_mov_b32_e32 v6, v3
	v_sub_u32_e32 v0, v0, v1
	v_mad_u64_u32 v[4:5], s[0:1], v4, s11, v[6:7]
	v_lshlrev_b32_e32 v0, 3, v0
	v_mov_b32_e32 v1, 0
	v_mov_b32_e32 v3, v4
	s_mov_b32 s5, 0x3f200000
	s_mov_b32 s9, 0x3fb8aa3b
	;; [unrolled: 1-line block ×4, first 2 shown]
	v_mov_b32_e32 v10, 0xbd5c1c4e
	v_mov_b32_e32 v11, 0x3e088382
	;; [unrolled: 1-line block ×4, first 2 shown]
	s_movk_i32 s7, 0x7fff
	v_mov_b32_e32 v14, 0x7f800000
	s_branch .LBB5_7
.LBB5_6:                                ;   in Loop: Header=BB5_7 Depth=1
	s_or_b64 exec, exec, s[0:1]
	v_cvt_f16_f32_e32 v5, v5
	v_lshrrev_b32_e32 v4, 16, v4
	s_add_i32 s8, s8, -1
	s_cmp_lg_u32 s8, 0
	v_bfi_b32 v4, s7, v5, v4
	v_add_u32_e32 v8, s3, v8
	global_store_short v[6:7], v4, off offset:14
	s_cbranch_scc0 .LBB5_39
.LBB5_7:                                ; =>This Inner Loop Header: Depth=1
	v_add_co_u32_e32 v4, vcc, v2, v8
	v_addc_co_u32_e32 v5, vcc, 0, v3, vcc
	v_mul_lo_u32 v6, v4, s10
	v_mul_lo_u32 v7, v5, s2
	v_mad_u64_u32 v[4:5], s[0:1], v4, s2, v[0:1]
	v_add3_u32 v5, v7, v5, v6
	v_lshlrev_b64 v[6:7], 1, v[4:5]
	v_add_co_u32_e32 v4, vcc, s4, v6
	v_addc_co_u32_e32 v5, vcc, v9, v7, vcc
	global_load_ushort v15, v[4:5], off
                                        ; implicit-def: $vgpr16
	s_waitcnt vmcnt(0)
	v_cvt_f32_f16_e32 v15, v15
	v_cmp_nlt_f32_e64 s[0:1], |v15|, s5
	s_and_saveexec_b64 s[14:15], s[0:1]
	s_xor_b64 s[0:1], exec, s[14:15]
	s_cbranch_execz .LBB5_9
; %bb.8:                                ;   in Loop: Header=BB5_7 Depth=1
	v_add_f32_e64 v16, |v15|, |v15|
	v_mul_f32_e32 v17, 0x3fb8aa3b, v16
	v_rndne_f32_e32 v18, v17
	v_sub_f32_e32 v19, v17, v18
	v_fma_f32 v17, v16, s9, -v17
	v_fmac_f32_e32 v17, 0x32a5705f, v16
	v_add_f32_e32 v17, v19, v17
	v_cvt_i32_f32_e32 v18, v18
	v_exp_f32_e32 v17, v17
	v_cmp_ngt_f32_e32 vcc, s11, v16
	v_ldexp_f32 v17, v17, v18
	v_cndmask_b32_e32 v17, 0, v17, vcc
	v_cmp_nlt_f32_e32 vcc, s12, v16
	v_cndmask_b32_e32 v16, v14, v17, vcc
	v_add_f32_e32 v16, 1.0, v16
	v_rcp_f32_e32 v16, v16
	v_fma_f32 v16, v16, -2.0, 1.0
.LBB5_9:                                ;   in Loop: Header=BB5_7 Depth=1
	s_andn2_saveexec_b64 s[0:1], s[0:1]
; %bb.10:                               ;   in Loop: Header=BB5_7 Depth=1
	v_mul_f32_e32 v16, v15, v15
	v_mov_b32_e32 v17, 0x3ca908c9
	v_fmac_f32_e32 v17, 0xbbbac73d, v16
	v_fma_f32 v17, v16, v17, v10
	v_fma_f32 v17, v16, v17, v11
	v_fma_f32 v17, v16, v17, v12
	v_mul_f32_e64 v17, |v15|, v17
	v_fma_f32 v16, v16, v17, |v15|
; %bb.11:                               ;   in Loop: Header=BB5_7 Depth=1
	s_or_b64 exec, exec, s[0:1]
	global_load_ushort v17, v[4:5], off offset:2
	v_cvt_f16_f32_e32 v18, v16
	v_add_co_u32_e32 v6, vcc, s6, v6
	v_lshrrev_b32_e32 v15, 16, v15
	v_addc_co_u32_e32 v7, vcc, v13, v7, vcc
	v_bfi_b32 v15, s7, v18, v15
	global_store_short v[6:7], v15, off
                                        ; implicit-def: $vgpr15
	s_waitcnt vmcnt(1)
	v_cvt_f32_f16_e32 v16, v17
	v_cmp_nlt_f32_e64 s[0:1], |v16|, s5
	s_and_saveexec_b64 s[14:15], s[0:1]
	s_xor_b64 s[0:1], exec, s[14:15]
	s_cbranch_execz .LBB5_13
; %bb.12:                               ;   in Loop: Header=BB5_7 Depth=1
	v_add_f32_e64 v15, |v16|, |v16|
	v_mul_f32_e32 v17, 0x3fb8aa3b, v15
	v_rndne_f32_e32 v18, v17
	v_sub_f32_e32 v19, v17, v18
	v_fma_f32 v17, v15, s9, -v17
	v_fmac_f32_e32 v17, 0x32a5705f, v15
	v_add_f32_e32 v17, v19, v17
	v_cvt_i32_f32_e32 v18, v18
	v_exp_f32_e32 v17, v17
	v_cmp_ngt_f32_e32 vcc, s11, v15
	v_ldexp_f32 v17, v17, v18
	v_cndmask_b32_e32 v17, 0, v17, vcc
	v_cmp_nlt_f32_e32 vcc, s12, v15
	v_cndmask_b32_e32 v15, v14, v17, vcc
	v_add_f32_e32 v15, 1.0, v15
	v_rcp_f32_e32 v15, v15
	v_fma_f32 v15, v15, -2.0, 1.0
.LBB5_13:                               ;   in Loop: Header=BB5_7 Depth=1
	s_andn2_saveexec_b64 s[0:1], s[0:1]
; %bb.14:                               ;   in Loop: Header=BB5_7 Depth=1
	v_mul_f32_e32 v15, v16, v16
	v_mov_b32_e32 v17, 0x3ca908c9
	v_fmac_f32_e32 v17, 0xbbbac73d, v15
	v_fma_f32 v17, v15, v17, v10
	v_fma_f32 v17, v15, v17, v11
	;; [unrolled: 1-line block ×3, first 2 shown]
	v_mul_f32_e64 v17, |v16|, v17
	v_fma_f32 v15, v15, v17, |v16|
; %bb.15:                               ;   in Loop: Header=BB5_7 Depth=1
	s_or_b64 exec, exec, s[0:1]
	global_load_ushort v17, v[4:5], off offset:4
	v_cvt_f16_f32_e32 v18, v15
	v_lshrrev_b32_e32 v16, 16, v16
	v_bfi_b32 v16, s7, v18, v16
	global_store_short v[6:7], v16, off offset:2
                                        ; implicit-def: $vgpr16
	s_waitcnt vmcnt(1)
	v_cvt_f32_f16_e32 v15, v17
	v_cmp_nlt_f32_e64 s[0:1], |v15|, s5
	s_and_saveexec_b64 s[14:15], s[0:1]
	s_xor_b64 s[0:1], exec, s[14:15]
	s_cbranch_execz .LBB5_17
; %bb.16:                               ;   in Loop: Header=BB5_7 Depth=1
	v_add_f32_e64 v16, |v15|, |v15|
	v_mul_f32_e32 v17, 0x3fb8aa3b, v16
	v_rndne_f32_e32 v18, v17
	v_sub_f32_e32 v19, v17, v18
	v_fma_f32 v17, v16, s9, -v17
	v_fmac_f32_e32 v17, 0x32a5705f, v16
	v_add_f32_e32 v17, v19, v17
	v_cvt_i32_f32_e32 v18, v18
	v_exp_f32_e32 v17, v17
	v_cmp_ngt_f32_e32 vcc, s11, v16
	v_ldexp_f32 v17, v17, v18
	v_cndmask_b32_e32 v17, 0, v17, vcc
	v_cmp_nlt_f32_e32 vcc, s12, v16
	v_cndmask_b32_e32 v16, v14, v17, vcc
	v_add_f32_e32 v16, 1.0, v16
	v_rcp_f32_e32 v16, v16
	v_fma_f32 v16, v16, -2.0, 1.0
.LBB5_17:                               ;   in Loop: Header=BB5_7 Depth=1
	s_andn2_saveexec_b64 s[0:1], s[0:1]
; %bb.18:                               ;   in Loop: Header=BB5_7 Depth=1
	v_mul_f32_e32 v16, v15, v15
	v_mov_b32_e32 v17, 0x3ca908c9
	v_fmac_f32_e32 v17, 0xbbbac73d, v16
	v_fma_f32 v17, v16, v17, v10
	v_fma_f32 v17, v16, v17, v11
	;; [unrolled: 1-line block ×3, first 2 shown]
	v_mul_f32_e64 v17, |v15|, v17
	v_fma_f32 v16, v16, v17, |v15|
; %bb.19:                               ;   in Loop: Header=BB5_7 Depth=1
	s_or_b64 exec, exec, s[0:1]
	global_load_ushort v17, v[4:5], off offset:6
	v_cvt_f16_f32_e32 v18, v16
	v_lshrrev_b32_e32 v15, 16, v15
	v_bfi_b32 v15, s7, v18, v15
	global_store_short v[6:7], v15, off offset:4
                                        ; implicit-def: $vgpr15
	s_waitcnt vmcnt(1)
	v_cvt_f32_f16_e32 v16, v17
	v_cmp_nlt_f32_e64 s[0:1], |v16|, s5
	s_and_saveexec_b64 s[14:15], s[0:1]
	s_xor_b64 s[0:1], exec, s[14:15]
	s_cbranch_execz .LBB5_21
; %bb.20:                               ;   in Loop: Header=BB5_7 Depth=1
	v_add_f32_e64 v15, |v16|, |v16|
	v_mul_f32_e32 v17, 0x3fb8aa3b, v15
	v_rndne_f32_e32 v18, v17
	v_sub_f32_e32 v19, v17, v18
	v_fma_f32 v17, v15, s9, -v17
	v_fmac_f32_e32 v17, 0x32a5705f, v15
	v_add_f32_e32 v17, v19, v17
	v_cvt_i32_f32_e32 v18, v18
	v_exp_f32_e32 v17, v17
	v_cmp_ngt_f32_e32 vcc, s11, v15
	v_ldexp_f32 v17, v17, v18
	v_cndmask_b32_e32 v17, 0, v17, vcc
	v_cmp_nlt_f32_e32 vcc, s12, v15
	v_cndmask_b32_e32 v15, v14, v17, vcc
	v_add_f32_e32 v15, 1.0, v15
	v_rcp_f32_e32 v15, v15
	v_fma_f32 v15, v15, -2.0, 1.0
.LBB5_21:                               ;   in Loop: Header=BB5_7 Depth=1
	s_andn2_saveexec_b64 s[0:1], s[0:1]
; %bb.22:                               ;   in Loop: Header=BB5_7 Depth=1
	v_mul_f32_e32 v15, v16, v16
	v_mov_b32_e32 v17, 0x3ca908c9
	v_fmac_f32_e32 v17, 0xbbbac73d, v15
	v_fma_f32 v17, v15, v17, v10
	v_fma_f32 v17, v15, v17, v11
	;; [unrolled: 1-line block ×3, first 2 shown]
	v_mul_f32_e64 v17, |v16|, v17
	v_fma_f32 v15, v15, v17, |v16|
; %bb.23:                               ;   in Loop: Header=BB5_7 Depth=1
	s_or_b64 exec, exec, s[0:1]
	global_load_ushort v17, v[4:5], off offset:8
	v_cvt_f16_f32_e32 v18, v15
	v_lshrrev_b32_e32 v16, 16, v16
	v_bfi_b32 v16, s7, v18, v16
	global_store_short v[6:7], v16, off offset:6
                                        ; implicit-def: $vgpr16
	s_waitcnt vmcnt(1)
	v_cvt_f32_f16_e32 v15, v17
	v_cmp_nlt_f32_e64 s[0:1], |v15|, s5
	s_and_saveexec_b64 s[14:15], s[0:1]
	s_xor_b64 s[0:1], exec, s[14:15]
	s_cbranch_execz .LBB5_25
; %bb.24:                               ;   in Loop: Header=BB5_7 Depth=1
	v_add_f32_e64 v16, |v15|, |v15|
	v_mul_f32_e32 v17, 0x3fb8aa3b, v16
	v_rndne_f32_e32 v18, v17
	v_sub_f32_e32 v19, v17, v18
	v_fma_f32 v17, v16, s9, -v17
	v_fmac_f32_e32 v17, 0x32a5705f, v16
	v_add_f32_e32 v17, v19, v17
	v_cvt_i32_f32_e32 v18, v18
	v_exp_f32_e32 v17, v17
	v_cmp_ngt_f32_e32 vcc, s11, v16
	v_ldexp_f32 v17, v17, v18
	v_cndmask_b32_e32 v17, 0, v17, vcc
	v_cmp_nlt_f32_e32 vcc, s12, v16
	v_cndmask_b32_e32 v16, v14, v17, vcc
	v_add_f32_e32 v16, 1.0, v16
	v_rcp_f32_e32 v16, v16
	v_fma_f32 v16, v16, -2.0, 1.0
.LBB5_25:                               ;   in Loop: Header=BB5_7 Depth=1
	s_andn2_saveexec_b64 s[0:1], s[0:1]
; %bb.26:                               ;   in Loop: Header=BB5_7 Depth=1
	v_mul_f32_e32 v16, v15, v15
	v_mov_b32_e32 v17, 0x3ca908c9
	v_fmac_f32_e32 v17, 0xbbbac73d, v16
	v_fma_f32 v17, v16, v17, v10
	v_fma_f32 v17, v16, v17, v11
	;; [unrolled: 1-line block ×3, first 2 shown]
	v_mul_f32_e64 v17, |v15|, v17
	v_fma_f32 v16, v16, v17, |v15|
; %bb.27:                               ;   in Loop: Header=BB5_7 Depth=1
	s_or_b64 exec, exec, s[0:1]
	global_load_ushort v17, v[4:5], off offset:10
	v_cvt_f16_f32_e32 v18, v16
	v_lshrrev_b32_e32 v15, 16, v15
	v_bfi_b32 v15, s7, v18, v15
	global_store_short v[6:7], v15, off offset:8
                                        ; implicit-def: $vgpr15
	s_waitcnt vmcnt(1)
	v_cvt_f32_f16_e32 v16, v17
	v_cmp_nlt_f32_e64 s[0:1], |v16|, s5
	s_and_saveexec_b64 s[14:15], s[0:1]
	s_xor_b64 s[0:1], exec, s[14:15]
	s_cbranch_execz .LBB5_29
; %bb.28:                               ;   in Loop: Header=BB5_7 Depth=1
	v_add_f32_e64 v15, |v16|, |v16|
	v_mul_f32_e32 v17, 0x3fb8aa3b, v15
	v_rndne_f32_e32 v18, v17
	v_sub_f32_e32 v19, v17, v18
	v_fma_f32 v17, v15, s9, -v17
	v_fmac_f32_e32 v17, 0x32a5705f, v15
	v_add_f32_e32 v17, v19, v17
	v_cvt_i32_f32_e32 v18, v18
	v_exp_f32_e32 v17, v17
	v_cmp_ngt_f32_e32 vcc, s11, v15
	v_ldexp_f32 v17, v17, v18
	v_cndmask_b32_e32 v17, 0, v17, vcc
	v_cmp_nlt_f32_e32 vcc, s12, v15
	v_cndmask_b32_e32 v15, v14, v17, vcc
	v_add_f32_e32 v15, 1.0, v15
	v_rcp_f32_e32 v15, v15
	v_fma_f32 v15, v15, -2.0, 1.0
.LBB5_29:                               ;   in Loop: Header=BB5_7 Depth=1
	s_andn2_saveexec_b64 s[0:1], s[0:1]
; %bb.30:                               ;   in Loop: Header=BB5_7 Depth=1
	v_mul_f32_e32 v15, v16, v16
	v_mov_b32_e32 v17, 0x3ca908c9
	v_fmac_f32_e32 v17, 0xbbbac73d, v15
	v_fma_f32 v17, v15, v17, v10
	v_fma_f32 v17, v15, v17, v11
	;; [unrolled: 1-line block ×3, first 2 shown]
	v_mul_f32_e64 v17, |v16|, v17
	v_fma_f32 v15, v15, v17, |v16|
; %bb.31:                               ;   in Loop: Header=BB5_7 Depth=1
	s_or_b64 exec, exec, s[0:1]
	global_load_ushort v17, v[4:5], off offset:12
	v_cvt_f16_f32_e32 v18, v15
	v_lshrrev_b32_e32 v16, 16, v16
	v_bfi_b32 v16, s7, v18, v16
	global_store_short v[6:7], v16, off offset:10
                                        ; implicit-def: $vgpr16
	s_waitcnt vmcnt(1)
	v_cvt_f32_f16_e32 v15, v17
	v_cmp_nlt_f32_e64 s[0:1], |v15|, s5
	s_and_saveexec_b64 s[14:15], s[0:1]
	s_xor_b64 s[0:1], exec, s[14:15]
	s_cbranch_execz .LBB5_33
; %bb.32:                               ;   in Loop: Header=BB5_7 Depth=1
	v_add_f32_e64 v16, |v15|, |v15|
	v_mul_f32_e32 v17, 0x3fb8aa3b, v16
	v_rndne_f32_e32 v18, v17
	v_sub_f32_e32 v19, v17, v18
	v_fma_f32 v17, v16, s9, -v17
	v_fmac_f32_e32 v17, 0x32a5705f, v16
	v_add_f32_e32 v17, v19, v17
	v_cvt_i32_f32_e32 v18, v18
	v_exp_f32_e32 v17, v17
	v_cmp_ngt_f32_e32 vcc, s11, v16
	v_ldexp_f32 v17, v17, v18
	v_cndmask_b32_e32 v17, 0, v17, vcc
	v_cmp_nlt_f32_e32 vcc, s12, v16
	v_cndmask_b32_e32 v16, v14, v17, vcc
	v_add_f32_e32 v16, 1.0, v16
	v_rcp_f32_e32 v16, v16
	v_fma_f32 v16, v16, -2.0, 1.0
.LBB5_33:                               ;   in Loop: Header=BB5_7 Depth=1
	s_andn2_saveexec_b64 s[0:1], s[0:1]
; %bb.34:                               ;   in Loop: Header=BB5_7 Depth=1
	v_mul_f32_e32 v16, v15, v15
	v_mov_b32_e32 v17, 0x3ca908c9
	v_fmac_f32_e32 v17, 0xbbbac73d, v16
	v_fma_f32 v17, v16, v17, v10
	v_fma_f32 v17, v16, v17, v11
	;; [unrolled: 1-line block ×3, first 2 shown]
	v_mul_f32_e64 v17, |v15|, v17
	v_fma_f32 v16, v16, v17, |v15|
; %bb.35:                               ;   in Loop: Header=BB5_7 Depth=1
	s_or_b64 exec, exec, s[0:1]
	global_load_ushort v4, v[4:5], off offset:14
	v_cvt_f16_f32_e32 v5, v16
	v_lshrrev_b32_e32 v15, 16, v15
	v_bfi_b32 v5, s7, v5, v15
	global_store_short v[6:7], v5, off offset:12
                                        ; implicit-def: $vgpr5
	s_waitcnt vmcnt(1)
	v_cvt_f32_f16_e32 v4, v4
	v_cmp_nlt_f32_e64 s[0:1], |v4|, s5
	s_and_saveexec_b64 s[14:15], s[0:1]
	s_xor_b64 s[0:1], exec, s[14:15]
	s_cbranch_execz .LBB5_37
; %bb.36:                               ;   in Loop: Header=BB5_7 Depth=1
	v_add_f32_e64 v5, |v4|, |v4|
	v_mul_f32_e32 v15, 0x3fb8aa3b, v5
	v_rndne_f32_e32 v16, v15
	v_sub_f32_e32 v17, v15, v16
	v_fma_f32 v15, v5, s9, -v15
	v_fmac_f32_e32 v15, 0x32a5705f, v5
	v_add_f32_e32 v15, v17, v15
	v_cvt_i32_f32_e32 v16, v16
	v_exp_f32_e32 v15, v15
	v_cmp_ngt_f32_e32 vcc, s11, v5
	v_ldexp_f32 v15, v15, v16
	v_cndmask_b32_e32 v15, 0, v15, vcc
	v_cmp_nlt_f32_e32 vcc, s12, v5
	v_cndmask_b32_e32 v5, v14, v15, vcc
	v_add_f32_e32 v5, 1.0, v5
	v_rcp_f32_e32 v5, v5
	v_fma_f32 v5, v5, -2.0, 1.0
.LBB5_37:                               ;   in Loop: Header=BB5_7 Depth=1
	s_andn2_saveexec_b64 s[0:1], s[0:1]
	s_cbranch_execz .LBB5_6
; %bb.38:                               ;   in Loop: Header=BB5_7 Depth=1
	v_mul_f32_e32 v5, v4, v4
	v_mov_b32_e32 v15, 0x3ca908c9
	v_fmac_f32_e32 v15, 0xbbbac73d, v5
	v_fma_f32 v15, v5, v15, v10
	v_fma_f32 v15, v5, v15, v11
	;; [unrolled: 1-line block ×3, first 2 shown]
	v_mul_f32_e64 v15, |v4|, v15
	v_fma_f32 v5, v5, v15, |v4|
	s_branch .LBB5_6
.LBB5_39:
	s_endpgm
	.section	.rodata,"a",@progbits
	.p2align	6, 0x0
	.amdhsa_kernel _ZN5aiter26unary_operator_tile_kernelIN3c104HalfELi8ELi8ENS_6TanhOpEEEvPKvPviii
		.amdhsa_group_segment_fixed_size 0
		.amdhsa_private_segment_fixed_size 0
		.amdhsa_kernarg_size 288
		.amdhsa_user_sgpr_count 6
		.amdhsa_user_sgpr_private_segment_buffer 1
		.amdhsa_user_sgpr_dispatch_ptr 0
		.amdhsa_user_sgpr_queue_ptr 0
		.amdhsa_user_sgpr_kernarg_segment_ptr 1
		.amdhsa_user_sgpr_dispatch_id 0
		.amdhsa_user_sgpr_flat_scratch_init 0
		.amdhsa_user_sgpr_kernarg_preload_length 0
		.amdhsa_user_sgpr_kernarg_preload_offset 0
		.amdhsa_user_sgpr_private_segment_size 0
		.amdhsa_uses_dynamic_stack 0
		.amdhsa_system_sgpr_private_segment_wavefront_offset 0
		.amdhsa_system_sgpr_workgroup_id_x 1
		.amdhsa_system_sgpr_workgroup_id_y 0
		.amdhsa_system_sgpr_workgroup_id_z 0
		.amdhsa_system_sgpr_workgroup_info 0
		.amdhsa_system_vgpr_workitem_id 0
		.amdhsa_next_free_vgpr 20
		.amdhsa_next_free_sgpr 16
		.amdhsa_accum_offset 20
		.amdhsa_reserve_vcc 1
		.amdhsa_reserve_flat_scratch 0
		.amdhsa_float_round_mode_32 0
		.amdhsa_float_round_mode_16_64 0
		.amdhsa_float_denorm_mode_32 3
		.amdhsa_float_denorm_mode_16_64 3
		.amdhsa_dx10_clamp 1
		.amdhsa_ieee_mode 1
		.amdhsa_fp16_overflow 0
		.amdhsa_tg_split 0
		.amdhsa_exception_fp_ieee_invalid_op 0
		.amdhsa_exception_fp_denorm_src 0
		.amdhsa_exception_fp_ieee_div_zero 0
		.amdhsa_exception_fp_ieee_overflow 0
		.amdhsa_exception_fp_ieee_underflow 0
		.amdhsa_exception_fp_ieee_inexact 0
		.amdhsa_exception_int_div_zero 0
	.end_amdhsa_kernel
	.section	.text._ZN5aiter26unary_operator_tile_kernelIN3c104HalfELi8ELi8ENS_6TanhOpEEEvPKvPviii,"axG",@progbits,_ZN5aiter26unary_operator_tile_kernelIN3c104HalfELi8ELi8ENS_6TanhOpEEEvPKvPviii,comdat
.Lfunc_end5:
	.size	_ZN5aiter26unary_operator_tile_kernelIN3c104HalfELi8ELi8ENS_6TanhOpEEEvPKvPviii, .Lfunc_end5-_ZN5aiter26unary_operator_tile_kernelIN3c104HalfELi8ELi8ENS_6TanhOpEEEvPKvPviii
                                        ; -- End function
	.section	.AMDGPU.csdata,"",@progbits
; Kernel info:
; codeLenInByte = 2940
; NumSgprs: 20
; NumVgprs: 20
; NumAgprs: 0
; TotalNumVgprs: 20
; ScratchSize: 0
; MemoryBound: 0
; FloatMode: 240
; IeeeMode: 1
; LDSByteSize: 0 bytes/workgroup (compile time only)
; SGPRBlocks: 2
; VGPRBlocks: 2
; NumSGPRsForWavesPerEU: 20
; NumVGPRsForWavesPerEU: 20
; AccumOffset: 20
; Occupancy: 8
; WaveLimiterHint : 0
; COMPUTE_PGM_RSRC2:SCRATCH_EN: 0
; COMPUTE_PGM_RSRC2:USER_SGPR: 6
; COMPUTE_PGM_RSRC2:TRAP_HANDLER: 0
; COMPUTE_PGM_RSRC2:TGID_X_EN: 1
; COMPUTE_PGM_RSRC2:TGID_Y_EN: 0
; COMPUTE_PGM_RSRC2:TGID_Z_EN: 0
; COMPUTE_PGM_RSRC2:TIDIG_COMP_CNT: 0
; COMPUTE_PGM_RSRC3_GFX90A:ACCUM_OFFSET: 4
; COMPUTE_PGM_RSRC3_GFX90A:TG_SPLIT: 0
	.section	.text._ZN5aiter26unary_operator_tile_kernelIN3c108BFloat16ELi8ELi8ENS_6TanhOpEEEvPKvPviii,"axG",@progbits,_ZN5aiter26unary_operator_tile_kernelIN3c108BFloat16ELi8ELi8ENS_6TanhOpEEEvPKvPviii,comdat
	.protected	_ZN5aiter26unary_operator_tile_kernelIN3c108BFloat16ELi8ELi8ENS_6TanhOpEEEvPKvPviii ; -- Begin function _ZN5aiter26unary_operator_tile_kernelIN3c108BFloat16ELi8ELi8ENS_6TanhOpEEEvPKvPviii
	.globl	_ZN5aiter26unary_operator_tile_kernelIN3c108BFloat16ELi8ELi8ENS_6TanhOpEEEvPKvPviii
	.p2align	8
	.type	_ZN5aiter26unary_operator_tile_kernelIN3c108BFloat16ELi8ELi8ENS_6TanhOpEEEvPKvPviii,@function
_ZN5aiter26unary_operator_tile_kernelIN3c108BFloat16ELi8ELi8ENS_6TanhOpEEEvPKvPviii: ; @_ZN5aiter26unary_operator_tile_kernelIN3c108BFloat16ELi8ELi8ENS_6TanhOpEEEvPKvPviii
; %bb.0:
	s_load_dword s7, s[4:5], 0x2c
	s_load_dwordx4 s[0:3], s[4:5], 0x10
	v_mov_b32_e32 v2, 0
	v_mov_b32_e32 v1, v2
	;; [unrolled: 1-line block ×3, first 2 shown]
	s_waitcnt lgkmcnt(0)
	s_and_b32 s3, s7, 0xffff
	v_mad_u64_u32 v[0:1], s[6:7], s3, v3, v[0:1]
	s_ashr_i32 s11, s1, 31
	s_ashr_i32 s10, s2, 31
	s_lshr_b32 s3, s11, 29
	s_lshr_b32 s6, s10, 29
	s_add_i32 s3, s1, s3
	s_add_i32 s6, s2, s6
	s_ashr_i32 s3, s3, 3
	s_ashr_i32 s12, s6, 3
	;; [unrolled: 1-line block ×3, first 2 shown]
	s_mul_i32 s6, s3, s6
	s_mul_hi_u32 s7, s3, s0
	s_add_i32 s6, s7, s6
	s_mul_i32 s0, s3, s0
	s_mul_hi_u32 s7, s0, s12
	s_mul_i32 s6, s6, s12
	s_add_i32 s7, s7, s6
	s_mul_i32 s6, s0, s12
	v_cmp_gt_u64_e32 vcc, s[6:7], v[0:1]
	s_and_saveexec_b64 s[6:7], vcc
	s_cbranch_execz .LBB6_39
; %bb.1:
	s_load_dwordx4 s[4:7], s[4:5], 0x0
	v_mov_b32_e32 v3, v1
	s_mul_i32 s0, s12, s3
	v_cmp_ne_u64_e32 vcc, 0, v[2:3]
                                        ; implicit-def: $vgpr4_vgpr5
	s_and_saveexec_b64 s[8:9], vcc
	s_xor_b64 s[8:9], exec, s[8:9]
	s_cbranch_execz .LBB6_3
; %bb.2:
	v_cvt_f32_u32_e32 v2, s0
	v_mov_b32_e32 v3, 0x4f800000
	s_sub_u32 s13, 0, s0
	s_subb_u32 s14, 0, 0
	v_mac_f32_e32 v2, 0, v3
	v_rcp_f32_e32 v2, v2
	v_mul_f32_e32 v2, 0x5f7ffffc, v2
	v_mul_f32_e32 v3, 0x2f800000, v2
	v_trunc_f32_e32 v3, v3
	v_madmk_f32 v2, v3, 0xcf800000, v2
	v_cvt_u32_f32_e32 v3, v3
	v_cvt_u32_f32_e32 v2, v2
	v_mul_lo_u32 v4, s13, v3
	v_mul_hi_u32 v6, s13, v2
	v_mul_lo_u32 v5, s14, v2
	v_add_u32_e32 v4, v6, v4
	v_mul_lo_u32 v7, s13, v2
	v_add_u32_e32 v4, v4, v5
	v_mul_hi_u32 v6, v2, v7
	v_mul_lo_u32 v8, v2, v4
	v_mul_hi_u32 v5, v2, v4
	v_add_co_u32_e32 v6, vcc, v6, v8
	v_addc_co_u32_e32 v5, vcc, 0, v5, vcc
	v_mul_hi_u32 v9, v3, v7
	v_mul_lo_u32 v7, v3, v7
	v_add_co_u32_e32 v6, vcc, v6, v7
	v_mul_hi_u32 v8, v3, v4
	v_addc_co_u32_e32 v5, vcc, v5, v9, vcc
	v_addc_co_u32_e32 v6, vcc, 0, v8, vcc
	v_mul_lo_u32 v4, v3, v4
	v_add_co_u32_e32 v4, vcc, v5, v4
	v_addc_co_u32_e32 v5, vcc, 0, v6, vcc
	v_add_co_u32_e32 v2, vcc, v2, v4
	v_addc_co_u32_e32 v3, vcc, v3, v5, vcc
	v_mul_lo_u32 v4, s13, v3
	v_mul_hi_u32 v5, s13, v2
	v_add_u32_e32 v4, v5, v4
	v_mul_lo_u32 v5, s14, v2
	v_add_u32_e32 v4, v4, v5
	v_mul_lo_u32 v6, s13, v2
	v_mul_hi_u32 v7, v3, v6
	v_mul_lo_u32 v8, v3, v6
	v_mul_lo_u32 v10, v2, v4
	v_mul_hi_u32 v6, v2, v6
	v_mul_hi_u32 v9, v2, v4
	v_add_co_u32_e32 v6, vcc, v6, v10
	v_addc_co_u32_e32 v9, vcc, 0, v9, vcc
	v_add_co_u32_e32 v6, vcc, v6, v8
	v_mul_hi_u32 v5, v3, v4
	v_addc_co_u32_e32 v6, vcc, v9, v7, vcc
	v_addc_co_u32_e32 v5, vcc, 0, v5, vcc
	v_mul_lo_u32 v4, v3, v4
	v_add_co_u32_e32 v4, vcc, v6, v4
	v_addc_co_u32_e32 v5, vcc, 0, v5, vcc
	v_add_co_u32_e32 v4, vcc, v2, v4
	v_addc_co_u32_e32 v5, vcc, v3, v5, vcc
	v_mad_u64_u32 v[2:3], s[14:15], v0, v5, 0
	v_mul_hi_u32 v6, v0, v4
	v_add_co_u32_e32 v6, vcc, v6, v2
	v_addc_co_u32_e32 v7, vcc, 0, v3, vcc
	v_mad_u64_u32 v[2:3], s[14:15], v1, v5, 0
	v_mad_u64_u32 v[4:5], s[14:15], v1, v4, 0
	v_add_co_u32_e32 v4, vcc, v6, v4
	v_addc_co_u32_e32 v4, vcc, v7, v5, vcc
	v_addc_co_u32_e32 v3, vcc, 0, v3, vcc
	v_add_co_u32_e32 v6, vcc, v4, v2
	v_addc_co_u32_e32 v5, vcc, 0, v3, vcc
	v_mad_u64_u32 v[2:3], s[14:15], s0, v6, 0
	v_mov_b32_e32 v4, v3
	v_mad_u64_u32 v[4:5], s[14:15], s0, v5, v[4:5]
	v_sub_co_u32_e32 v2, vcc, v0, v2
	v_subb_co_u32_e32 v1, vcc, v1, v4, vcc
	v_subrev_co_u32_e32 v3, vcc, s0, v2
	v_subbrev_co_u32_e32 v4, vcc, 0, v1, vcc
	v_cmp_le_u32_e32 vcc, s0, v3
	v_cndmask_b32_e64 v3, 0, -1, vcc
	v_cmp_eq_u32_e32 vcc, 0, v4
	v_cndmask_b32_e32 v3, -1, v3, vcc
	v_add_co_u32_e32 v4, vcc, 2, v6
	v_add_co_u32_e32 v5, vcc, 1, v6
	v_cmp_le_u32_e32 vcc, s0, v2
	v_cndmask_b32_e64 v2, 0, -1, vcc
	v_cmp_eq_u32_e32 vcc, 0, v1
	v_cndmask_b32_e32 v1, -1, v2, vcc
	v_cmp_ne_u32_e32 vcc, 0, v3
	v_cndmask_b32_e32 v2, v5, v4, vcc
	v_cmp_ne_u32_e32 vcc, 0, v1
	v_cndmask_b32_e32 v4, v6, v2, vcc
.LBB6_3:
	s_andn2_saveexec_b64 s[8:9], s[8:9]
	s_cbranch_execz .LBB6_5
; %bb.4:
	v_cvt_f32_u32_e32 v1, s0
	s_sub_i32 s13, 0, s0
	v_rcp_iflag_f32_e32 v1, v1
	v_mul_f32_e32 v1, 0x4f7ffffe, v1
	v_cvt_u32_f32_e32 v1, v1
	v_mul_lo_u32 v2, s13, v1
	v_mul_hi_u32 v2, v1, v2
	v_add_u32_e32 v1, v1, v2
	v_mul_hi_u32 v1, v0, v1
	v_mul_lo_u32 v2, v1, s0
	v_sub_u32_e32 v2, v0, v2
	v_add_u32_e32 v3, 1, v1
	v_subrev_u32_e32 v4, s0, v2
	v_cmp_le_u32_e32 vcc, s0, v2
	v_cndmask_b32_e32 v2, v2, v4, vcc
	v_cndmask_b32_e32 v1, v1, v3, vcc
	v_add_u32_e32 v3, 1, v1
	v_cmp_le_u32_e32 vcc, s0, v2
	v_cndmask_b32_e32 v4, v1, v3, vcc
.LBB6_5:
	s_or_b64 exec, exec, s[8:9]
	v_cvt_f32_u32_e32 v1, s12
	v_cvt_f32_u32_e32 v3, s3
	v_mul_lo_u32 v2, v4, s0
	s_sub_i32 s0, 0, s12
	v_rcp_iflag_f32_e32 v1, v1
	v_sub_u32_e32 v0, v0, v2
	v_rcp_iflag_f32_e32 v2, v3
	s_mov_b32 s8, 8
	v_mul_f32_e32 v1, 0x4f7ffffe, v1
	v_cvt_u32_f32_e32 v1, v1
	v_mul_f32_e32 v2, 0x4f7ffffe, v2
	v_cvt_u32_f32_e32 v2, v2
	s_waitcnt lgkmcnt(0)
	v_mov_b32_e32 v9, s5
	v_mul_lo_u32 v3, s0, v1
	v_mul_hi_u32 v3, v1, v3
	v_add_u32_e32 v1, v1, v3
	v_mul_hi_u32 v1, v0, v1
	v_mul_lo_u32 v3, v1, s12
	v_sub_u32_e32 v3, v0, v3
	v_add_u32_e32 v5, 1, v1
	v_cmp_le_u32_e32 vcc, s12, v3
	v_cndmask_b32_e32 v1, v1, v5, vcc
	v_subrev_u32_e32 v5, s12, v3
	v_cndmask_b32_e32 v3, v3, v5, vcc
	s_sub_i32 s0, 0, s3
	v_cmp_le_u32_e32 vcc, s12, v3
	v_mul_lo_u32 v3, s0, v2
	v_add_u32_e32 v5, 1, v1
	v_mul_hi_u32 v3, v2, v3
	v_cndmask_b32_e32 v1, v1, v5, vcc
	v_add_u32_e32 v2, v2, v3
	v_mul_hi_u32 v2, v1, v2
	v_mul_lo_u32 v2, v2, s3
	v_sub_u32_e32 v2, v1, v2
	v_subrev_u32_e32 v3, s3, v2
	v_cmp_le_u32_e32 vcc, s3, v2
	v_cndmask_b32_e32 v2, v2, v3, vcc
	v_subrev_u32_e32 v3, s3, v2
	v_cmp_le_u32_e32 vcc, s3, v2
	v_cndmask_b32_e32 v8, v2, v3, vcc
	v_mad_u64_u32 v[2:3], s[0:1], v4, s1, 0
	v_mul_lo_u32 v1, v1, s12
	v_mov_b32_e32 v6, v3
	v_sub_u32_e32 v0, v0, v1
	v_mad_u64_u32 v[4:5], s[0:1], v4, s11, v[6:7]
	v_lshlrev_b32_e32 v0, 3, v0
	v_mov_b32_e32 v1, 0
	v_mov_b32_e32 v3, v4
	s_mov_b32 s5, 0x3f200000
	s_mov_b32 s9, 0x3fb8aa3b
	;; [unrolled: 1-line block ×4, first 2 shown]
	v_mov_b32_e32 v10, 0xbd5c1c4e
	v_mov_b32_e32 v11, 0x3e088382
	;; [unrolled: 1-line block ×4, first 2 shown]
	s_brev_b32 s7, -2
	s_movk_i32 s13, 0x7fff
	v_mov_b32_e32 v14, 0x7fc0
	v_mov_b32_e32 v15, 0x7f800000
	s_branch .LBB6_7
.LBB6_6:                                ;   in Loop: Header=BB6_7 Depth=1
	s_or_b64 exec, exec, s[0:1]
	v_bfi_b32 v4, s7, v5, v4
	v_bfe_u32 v5, v4, 16, 1
	v_add3_u32 v5, v4, v5, s13
	v_lshrrev_b32_e32 v5, 16, v5
	v_cmp_o_f32_e32 vcc, v4, v4
	s_add_i32 s8, s8, -1
	v_cndmask_b32_e32 v4, v14, v5, vcc
	s_cmp_lg_u32 s8, 0
	v_add_u32_e32 v8, s3, v8
	global_store_short v[6:7], v4, off offset:14
	s_cbranch_scc0 .LBB6_39
.LBB6_7:                                ; =>This Inner Loop Header: Depth=1
	v_add_co_u32_e32 v4, vcc, v2, v8
	v_addc_co_u32_e32 v5, vcc, 0, v3, vcc
	v_mul_lo_u32 v6, v4, s10
	v_mul_lo_u32 v7, v5, s2
	v_mad_u64_u32 v[4:5], s[0:1], v4, s2, v[0:1]
	v_add3_u32 v5, v7, v5, v6
	v_lshlrev_b64 v[6:7], 1, v[4:5]
	v_add_co_u32_e32 v4, vcc, s4, v6
	v_addc_co_u32_e32 v5, vcc, v9, v7, vcc
	global_load_ushort v16, v[4:5], off
	s_waitcnt vmcnt(0)
	v_lshrrev_b16_e32 v17, 8, v16
	v_and_b32_e32 v16, 0xff, v16
	v_lshlrev_b32_e32 v16, 16, v16
	v_lshl_or_b32 v16, v17, 24, v16
	v_cmp_nlt_f32_e64 s[0:1], |v16|, s5
                                        ; implicit-def: $vgpr17
	s_and_saveexec_b64 s[14:15], s[0:1]
	s_xor_b64 s[0:1], exec, s[14:15]
	s_cbranch_execz .LBB6_9
; %bb.8:                                ;   in Loop: Header=BB6_7 Depth=1
	v_add_f32_e64 v17, |v16|, |v16|
	v_mul_f32_e32 v18, 0x3fb8aa3b, v17
	v_rndne_f32_e32 v19, v18
	v_sub_f32_e32 v20, v18, v19
	v_fma_f32 v18, v17, s9, -v18
	v_fmac_f32_e32 v18, 0x32a5705f, v17
	v_add_f32_e32 v18, v20, v18
	v_cvt_i32_f32_e32 v19, v19
	v_exp_f32_e32 v18, v18
	v_cmp_ngt_f32_e32 vcc, s11, v17
	v_ldexp_f32 v18, v18, v19
	v_cndmask_b32_e32 v18, 0, v18, vcc
	v_cmp_nlt_f32_e32 vcc, s12, v17
	v_cndmask_b32_e32 v17, v15, v18, vcc
	v_add_f32_e32 v17, 1.0, v17
	v_rcp_f32_e32 v17, v17
	v_fma_f32 v17, v17, -2.0, 1.0
.LBB6_9:                                ;   in Loop: Header=BB6_7 Depth=1
	s_andn2_saveexec_b64 s[0:1], s[0:1]
; %bb.10:                               ;   in Loop: Header=BB6_7 Depth=1
	v_mul_f32_e32 v17, v16, v16
	v_mov_b32_e32 v18, 0x3ca908c9
	v_fmac_f32_e32 v18, 0xbbbac73d, v17
	v_fma_f32 v18, v17, v18, v10
	v_fma_f32 v18, v17, v18, v11
	v_fma_f32 v18, v17, v18, v12
	v_mul_f32_e64 v18, |v16|, v18
	v_fma_f32 v17, v17, v18, |v16|
; %bb.11:                               ;   in Loop: Header=BB6_7 Depth=1
	s_or_b64 exec, exec, s[0:1]
	global_load_ushort v18, v[4:5], off offset:2
	v_bfi_b32 v16, s7, v17, v16
	v_add_co_u32_e32 v6, vcc, s6, v6
	v_bfe_u32 v17, v16, 16, 1
	v_addc_co_u32_e32 v7, vcc, v13, v7, vcc
	v_add3_u32 v17, v16, v17, s13
	v_lshrrev_b32_e32 v17, 16, v17
	v_cmp_o_f32_e32 vcc, v16, v16
	v_cndmask_b32_e32 v16, v14, v17, vcc
	global_store_short v[6:7], v16, off
	s_waitcnt vmcnt(1)
	v_and_b32_e32 v17, 0xff, v18
	v_lshrrev_b16_e32 v16, 8, v18
	v_lshlrev_b32_e32 v17, 16, v17
	v_lshl_or_b32 v16, v16, 24, v17
	v_cmp_nlt_f32_e64 s[0:1], |v16|, s5
                                        ; implicit-def: $vgpr17
	s_and_saveexec_b64 s[14:15], s[0:1]
	s_xor_b64 s[0:1], exec, s[14:15]
	s_cbranch_execz .LBB6_13
; %bb.12:                               ;   in Loop: Header=BB6_7 Depth=1
	v_add_f32_e64 v17, |v16|, |v16|
	v_mul_f32_e32 v18, 0x3fb8aa3b, v17
	v_rndne_f32_e32 v19, v18
	v_sub_f32_e32 v20, v18, v19
	v_fma_f32 v18, v17, s9, -v18
	v_fmac_f32_e32 v18, 0x32a5705f, v17
	v_add_f32_e32 v18, v20, v18
	v_cvt_i32_f32_e32 v19, v19
	v_exp_f32_e32 v18, v18
	v_cmp_ngt_f32_e32 vcc, s11, v17
	v_ldexp_f32 v18, v18, v19
	v_cndmask_b32_e32 v18, 0, v18, vcc
	v_cmp_nlt_f32_e32 vcc, s12, v17
	v_cndmask_b32_e32 v17, v15, v18, vcc
	v_add_f32_e32 v17, 1.0, v17
	v_rcp_f32_e32 v17, v17
	v_fma_f32 v17, v17, -2.0, 1.0
.LBB6_13:                               ;   in Loop: Header=BB6_7 Depth=1
	s_andn2_saveexec_b64 s[0:1], s[0:1]
; %bb.14:                               ;   in Loop: Header=BB6_7 Depth=1
	v_mul_f32_e32 v17, v16, v16
	v_mov_b32_e32 v18, 0x3ca908c9
	v_fmac_f32_e32 v18, 0xbbbac73d, v17
	v_fma_f32 v18, v17, v18, v10
	v_fma_f32 v18, v17, v18, v11
	v_fma_f32 v18, v17, v18, v12
	v_mul_f32_e64 v18, |v16|, v18
	v_fma_f32 v17, v17, v18, |v16|
; %bb.15:                               ;   in Loop: Header=BB6_7 Depth=1
	s_or_b64 exec, exec, s[0:1]
	global_load_ushort v18, v[4:5], off offset:4
	v_bfi_b32 v16, s7, v17, v16
	v_bfe_u32 v17, v16, 16, 1
	v_add3_u32 v17, v16, v17, s13
	v_lshrrev_b32_e32 v17, 16, v17
	v_cmp_o_f32_e32 vcc, v16, v16
	v_cndmask_b32_e32 v16, v14, v17, vcc
	global_store_short v[6:7], v16, off offset:2
	s_waitcnt vmcnt(1)
	v_and_b32_e32 v17, 0xff, v18
	v_lshrrev_b16_e32 v16, 8, v18
	v_lshlrev_b32_e32 v17, 16, v17
	v_lshl_or_b32 v16, v16, 24, v17
	v_cmp_nlt_f32_e64 s[0:1], |v16|, s5
                                        ; implicit-def: $vgpr17
	s_and_saveexec_b64 s[14:15], s[0:1]
	s_xor_b64 s[0:1], exec, s[14:15]
	s_cbranch_execz .LBB6_17
; %bb.16:                               ;   in Loop: Header=BB6_7 Depth=1
	v_add_f32_e64 v17, |v16|, |v16|
	v_mul_f32_e32 v18, 0x3fb8aa3b, v17
	v_rndne_f32_e32 v19, v18
	v_sub_f32_e32 v20, v18, v19
	v_fma_f32 v18, v17, s9, -v18
	v_fmac_f32_e32 v18, 0x32a5705f, v17
	v_add_f32_e32 v18, v20, v18
	v_cvt_i32_f32_e32 v19, v19
	v_exp_f32_e32 v18, v18
	v_cmp_ngt_f32_e32 vcc, s11, v17
	v_ldexp_f32 v18, v18, v19
	v_cndmask_b32_e32 v18, 0, v18, vcc
	v_cmp_nlt_f32_e32 vcc, s12, v17
	v_cndmask_b32_e32 v17, v15, v18, vcc
	v_add_f32_e32 v17, 1.0, v17
	v_rcp_f32_e32 v17, v17
	v_fma_f32 v17, v17, -2.0, 1.0
.LBB6_17:                               ;   in Loop: Header=BB6_7 Depth=1
	s_andn2_saveexec_b64 s[0:1], s[0:1]
; %bb.18:                               ;   in Loop: Header=BB6_7 Depth=1
	v_mul_f32_e32 v17, v16, v16
	v_mov_b32_e32 v18, 0x3ca908c9
	v_fmac_f32_e32 v18, 0xbbbac73d, v17
	v_fma_f32 v18, v17, v18, v10
	v_fma_f32 v18, v17, v18, v11
	v_fma_f32 v18, v17, v18, v12
	v_mul_f32_e64 v18, |v16|, v18
	v_fma_f32 v17, v17, v18, |v16|
; %bb.19:                               ;   in Loop: Header=BB6_7 Depth=1
	s_or_b64 exec, exec, s[0:1]
	global_load_ushort v18, v[4:5], off offset:6
	v_bfi_b32 v16, s7, v17, v16
	v_bfe_u32 v17, v16, 16, 1
	v_add3_u32 v17, v16, v17, s13
	v_lshrrev_b32_e32 v17, 16, v17
	v_cmp_o_f32_e32 vcc, v16, v16
	v_cndmask_b32_e32 v16, v14, v17, vcc
	global_store_short v[6:7], v16, off offset:4
	;; [unrolled: 49-line block ×6, first 2 shown]
	s_waitcnt vmcnt(1)
	v_lshrrev_b16_e32 v5, 8, v4
	v_and_b32_e32 v4, 0xff, v4
	v_lshlrev_b32_e32 v4, 16, v4
	v_lshl_or_b32 v4, v5, 24, v4
	v_cmp_nlt_f32_e64 s[0:1], |v4|, s5
                                        ; implicit-def: $vgpr5
	s_and_saveexec_b64 s[14:15], s[0:1]
	s_xor_b64 s[0:1], exec, s[14:15]
	s_cbranch_execz .LBB6_37
; %bb.36:                               ;   in Loop: Header=BB6_7 Depth=1
	v_add_f32_e64 v5, |v4|, |v4|
	v_mul_f32_e32 v16, 0x3fb8aa3b, v5
	v_rndne_f32_e32 v17, v16
	v_sub_f32_e32 v18, v16, v17
	v_fma_f32 v16, v5, s9, -v16
	v_fmac_f32_e32 v16, 0x32a5705f, v5
	v_add_f32_e32 v16, v18, v16
	v_cvt_i32_f32_e32 v17, v17
	v_exp_f32_e32 v16, v16
	v_cmp_ngt_f32_e32 vcc, s11, v5
	v_ldexp_f32 v16, v16, v17
	v_cndmask_b32_e32 v16, 0, v16, vcc
	v_cmp_nlt_f32_e32 vcc, s12, v5
	v_cndmask_b32_e32 v5, v15, v16, vcc
	v_add_f32_e32 v5, 1.0, v5
	v_rcp_f32_e32 v5, v5
	v_fma_f32 v5, v5, -2.0, 1.0
.LBB6_37:                               ;   in Loop: Header=BB6_7 Depth=1
	s_andn2_saveexec_b64 s[0:1], s[0:1]
	s_cbranch_execz .LBB6_6
; %bb.38:                               ;   in Loop: Header=BB6_7 Depth=1
	v_mul_f32_e32 v5, v4, v4
	v_mov_b32_e32 v16, 0x3ca908c9
	v_fmac_f32_e32 v16, 0xbbbac73d, v5
	v_fma_f32 v16, v5, v16, v10
	v_fma_f32 v16, v5, v16, v11
	;; [unrolled: 1-line block ×3, first 2 shown]
	v_mul_f32_e64 v16, |v4|, v16
	v_fma_f32 v5, v5, v16, |v4|
	s_branch .LBB6_6
.LBB6_39:
	s_endpgm
	.section	.rodata,"a",@progbits
	.p2align	6, 0x0
	.amdhsa_kernel _ZN5aiter26unary_operator_tile_kernelIN3c108BFloat16ELi8ELi8ENS_6TanhOpEEEvPKvPviii
		.amdhsa_group_segment_fixed_size 0
		.amdhsa_private_segment_fixed_size 0
		.amdhsa_kernarg_size 288
		.amdhsa_user_sgpr_count 6
		.amdhsa_user_sgpr_private_segment_buffer 1
		.amdhsa_user_sgpr_dispatch_ptr 0
		.amdhsa_user_sgpr_queue_ptr 0
		.amdhsa_user_sgpr_kernarg_segment_ptr 1
		.amdhsa_user_sgpr_dispatch_id 0
		.amdhsa_user_sgpr_flat_scratch_init 0
		.amdhsa_user_sgpr_kernarg_preload_length 0
		.amdhsa_user_sgpr_kernarg_preload_offset 0
		.amdhsa_user_sgpr_private_segment_size 0
		.amdhsa_uses_dynamic_stack 0
		.amdhsa_system_sgpr_private_segment_wavefront_offset 0
		.amdhsa_system_sgpr_workgroup_id_x 1
		.amdhsa_system_sgpr_workgroup_id_y 0
		.amdhsa_system_sgpr_workgroup_id_z 0
		.amdhsa_system_sgpr_workgroup_info 0
		.amdhsa_system_vgpr_workitem_id 0
		.amdhsa_next_free_vgpr 21
		.amdhsa_next_free_sgpr 16
		.amdhsa_accum_offset 24
		.amdhsa_reserve_vcc 1
		.amdhsa_reserve_flat_scratch 0
		.amdhsa_float_round_mode_32 0
		.amdhsa_float_round_mode_16_64 0
		.amdhsa_float_denorm_mode_32 3
		.amdhsa_float_denorm_mode_16_64 3
		.amdhsa_dx10_clamp 1
		.amdhsa_ieee_mode 1
		.amdhsa_fp16_overflow 0
		.amdhsa_tg_split 0
		.amdhsa_exception_fp_ieee_invalid_op 0
		.amdhsa_exception_fp_denorm_src 0
		.amdhsa_exception_fp_ieee_div_zero 0
		.amdhsa_exception_fp_ieee_overflow 0
		.amdhsa_exception_fp_ieee_underflow 0
		.amdhsa_exception_fp_ieee_inexact 0
		.amdhsa_exception_int_div_zero 0
	.end_amdhsa_kernel
	.section	.text._ZN5aiter26unary_operator_tile_kernelIN3c108BFloat16ELi8ELi8ENS_6TanhOpEEEvPKvPviii,"axG",@progbits,_ZN5aiter26unary_operator_tile_kernelIN3c108BFloat16ELi8ELi8ENS_6TanhOpEEEvPKvPviii,comdat
.Lfunc_end6:
	.size	_ZN5aiter26unary_operator_tile_kernelIN3c108BFloat16ELi8ELi8ENS_6TanhOpEEEvPKvPviii, .Lfunc_end6-_ZN5aiter26unary_operator_tile_kernelIN3c108BFloat16ELi8ELi8ENS_6TanhOpEEEvPKvPviii
                                        ; -- End function
	.section	.AMDGPU.csdata,"",@progbits
; Kernel info:
; codeLenInByte = 3272
; NumSgprs: 20
; NumVgprs: 21
; NumAgprs: 0
; TotalNumVgprs: 21
; ScratchSize: 0
; MemoryBound: 0
; FloatMode: 240
; IeeeMode: 1
; LDSByteSize: 0 bytes/workgroup (compile time only)
; SGPRBlocks: 2
; VGPRBlocks: 2
; NumSGPRsForWavesPerEU: 20
; NumVGPRsForWavesPerEU: 21
; AccumOffset: 24
; Occupancy: 8
; WaveLimiterHint : 0
; COMPUTE_PGM_RSRC2:SCRATCH_EN: 0
; COMPUTE_PGM_RSRC2:USER_SGPR: 6
; COMPUTE_PGM_RSRC2:TRAP_HANDLER: 0
; COMPUTE_PGM_RSRC2:TGID_X_EN: 1
; COMPUTE_PGM_RSRC2:TGID_Y_EN: 0
; COMPUTE_PGM_RSRC2:TGID_Z_EN: 0
; COMPUTE_PGM_RSRC2:TIDIG_COMP_CNT: 0
; COMPUTE_PGM_RSRC3_GFX90A:ACCUM_OFFSET: 5
; COMPUTE_PGM_RSRC3_GFX90A:TG_SPLIT: 0
	.text
	.p2alignl 6, 3212836864
	.fill 256, 4, 3212836864
	.type	__hip_cuid_a45a061b4bc73cd5,@object ; @__hip_cuid_a45a061b4bc73cd5
	.section	.bss,"aw",@nobits
	.globl	__hip_cuid_a45a061b4bc73cd5
__hip_cuid_a45a061b4bc73cd5:
	.byte	0                               ; 0x0
	.size	__hip_cuid_a45a061b4bc73cd5, 1

	.ident	"AMD clang version 19.0.0git (https://github.com/RadeonOpenCompute/llvm-project roc-6.4.0 25133 c7fe45cf4b819c5991fe208aaa96edf142730f1d)"
	.section	".note.GNU-stack","",@progbits
	.addrsig
	.addrsig_sym __hip_cuid_a45a061b4bc73cd5
	.amdgpu_metadata
---
amdhsa.kernels:
  - .agpr_count:     0
    .args:           []
    .group_segment_fixed_size: 0
    .kernarg_segment_align: 4
    .kernarg_segment_size: 0
    .language:       OpenCL C
    .language_version:
      - 2
      - 0
    .max_flat_workgroup_size: 1024
    .name:           _ZN7ck_tileL11flush_cacheEv
    .private_segment_fixed_size: 0
    .sgpr_count:     4
    .sgpr_spill_count: 0
    .symbol:         _ZN7ck_tileL11flush_cacheEv.kd
    .uniform_work_group_size: 1
    .uses_dynamic_stack: false
    .vgpr_count:     0
    .vgpr_spill_count: 0
    .wavefront_size: 64
  - .agpr_count:     0
    .args:
      - .actual_access:  read_only
        .address_space:  global
        .offset:         0
        .size:           8
        .value_kind:     global_buffer
      - .actual_access:  write_only
        .address_space:  global
        .offset:         8
        .size:           8
        .value_kind:     global_buffer
      - .offset:         16
        .size:           4
        .value_kind:     by_value
      - .offset:         20
        .size:           4
        .value_kind:     by_value
      - .offset:         24
        .size:           4
        .value_kind:     by_value
      - .offset:         32
        .size:           4
        .value_kind:     hidden_block_count_x
      - .offset:         36
        .size:           4
        .value_kind:     hidden_block_count_y
      - .offset:         40
        .size:           4
        .value_kind:     hidden_block_count_z
      - .offset:         44
        .size:           2
        .value_kind:     hidden_group_size_x
      - .offset:         46
        .size:           2
        .value_kind:     hidden_group_size_y
      - .offset:         48
        .size:           2
        .value_kind:     hidden_group_size_z
      - .offset:         50
        .size:           2
        .value_kind:     hidden_remainder_x
      - .offset:         52
        .size:           2
        .value_kind:     hidden_remainder_y
      - .offset:         54
        .size:           2
        .value_kind:     hidden_remainder_z
      - .offset:         72
        .size:           8
        .value_kind:     hidden_global_offset_x
      - .offset:         80
        .size:           8
        .value_kind:     hidden_global_offset_y
      - .offset:         88
        .size:           8
        .value_kind:     hidden_global_offset_z
      - .offset:         96
        .size:           2
        .value_kind:     hidden_grid_dims
    .group_segment_fixed_size: 0
    .kernarg_segment_align: 8
    .kernarg_segment_size: 288
    .language:       OpenCL C
    .language_version:
      - 2
      - 0
    .max_flat_workgroup_size: 1024
    .name:           _ZN5aiter26unary_operator_tile_kernelIfLi8ELi8ENS_9SigmoidOpEEEvPKvPviii
    .private_segment_fixed_size: 0
    .sgpr_count:     20
    .sgpr_spill_count: 0
    .symbol:         _ZN5aiter26unary_operator_tile_kernelIfLi8ELi8ENS_9SigmoidOpEEEvPKvPviii.kd
    .uniform_work_group_size: 1
    .uses_dynamic_stack: false
    .vgpr_count:     34
    .vgpr_spill_count: 0
    .wavefront_size: 64
  - .agpr_count:     0
    .args:
      - .actual_access:  read_only
        .address_space:  global
        .offset:         0
        .size:           8
        .value_kind:     global_buffer
      - .actual_access:  write_only
        .address_space:  global
        .offset:         8
        .size:           8
        .value_kind:     global_buffer
      - .offset:         16
        .size:           4
        .value_kind:     by_value
      - .offset:         20
        .size:           4
        .value_kind:     by_value
      - .offset:         24
        .size:           4
        .value_kind:     by_value
      - .offset:         32
        .size:           4
        .value_kind:     hidden_block_count_x
      - .offset:         36
        .size:           4
        .value_kind:     hidden_block_count_y
      - .offset:         40
        .size:           4
        .value_kind:     hidden_block_count_z
      - .offset:         44
        .size:           2
        .value_kind:     hidden_group_size_x
      - .offset:         46
        .size:           2
        .value_kind:     hidden_group_size_y
      - .offset:         48
        .size:           2
        .value_kind:     hidden_group_size_z
      - .offset:         50
        .size:           2
        .value_kind:     hidden_remainder_x
      - .offset:         52
        .size:           2
        .value_kind:     hidden_remainder_y
      - .offset:         54
        .size:           2
        .value_kind:     hidden_remainder_z
      - .offset:         72
        .size:           8
        .value_kind:     hidden_global_offset_x
      - .offset:         80
        .size:           8
        .value_kind:     hidden_global_offset_y
      - .offset:         88
        .size:           8
        .value_kind:     hidden_global_offset_z
      - .offset:         96
        .size:           2
        .value_kind:     hidden_grid_dims
    .group_segment_fixed_size: 0
    .kernarg_segment_align: 8
    .kernarg_segment_size: 288
    .language:       OpenCL C
    .language_version:
      - 2
      - 0
    .max_flat_workgroup_size: 1024
    .name:           _ZN5aiter26unary_operator_tile_kernelIN3c104HalfELi8ELi8ENS_9SigmoidOpEEEvPKvPviii
    .private_segment_fixed_size: 0
    .sgpr_count:     20
    .sgpr_spill_count: 0
    .symbol:         _ZN5aiter26unary_operator_tile_kernelIN3c104HalfELi8ELi8ENS_9SigmoidOpEEEvPKvPviii.kd
    .uniform_work_group_size: 1
    .uses_dynamic_stack: false
    .vgpr_count:     17
    .vgpr_spill_count: 0
    .wavefront_size: 64
  - .agpr_count:     0
    .args:
      - .actual_access:  read_only
        .address_space:  global
        .offset:         0
        .size:           8
        .value_kind:     global_buffer
      - .actual_access:  write_only
        .address_space:  global
        .offset:         8
        .size:           8
        .value_kind:     global_buffer
      - .offset:         16
        .size:           4
        .value_kind:     by_value
      - .offset:         20
        .size:           4
        .value_kind:     by_value
      - .offset:         24
        .size:           4
        .value_kind:     by_value
      - .offset:         32
        .size:           4
        .value_kind:     hidden_block_count_x
      - .offset:         36
        .size:           4
        .value_kind:     hidden_block_count_y
      - .offset:         40
        .size:           4
        .value_kind:     hidden_block_count_z
      - .offset:         44
        .size:           2
        .value_kind:     hidden_group_size_x
      - .offset:         46
        .size:           2
        .value_kind:     hidden_group_size_y
      - .offset:         48
        .size:           2
        .value_kind:     hidden_group_size_z
      - .offset:         50
        .size:           2
        .value_kind:     hidden_remainder_x
      - .offset:         52
        .size:           2
        .value_kind:     hidden_remainder_y
      - .offset:         54
        .size:           2
        .value_kind:     hidden_remainder_z
      - .offset:         72
        .size:           8
        .value_kind:     hidden_global_offset_x
      - .offset:         80
        .size:           8
        .value_kind:     hidden_global_offset_y
      - .offset:         88
        .size:           8
        .value_kind:     hidden_global_offset_z
      - .offset:         96
        .size:           2
        .value_kind:     hidden_grid_dims
    .group_segment_fixed_size: 0
    .kernarg_segment_align: 8
    .kernarg_segment_size: 288
    .language:       OpenCL C
    .language_version:
      - 2
      - 0
    .max_flat_workgroup_size: 1024
    .name:           _ZN5aiter26unary_operator_tile_kernelIN3c108BFloat16ELi8ELi8ENS_9SigmoidOpEEEvPKvPviii
    .private_segment_fixed_size: 0
    .sgpr_count:     22
    .sgpr_spill_count: 0
    .symbol:         _ZN5aiter26unary_operator_tile_kernelIN3c108BFloat16ELi8ELi8ENS_9SigmoidOpEEEvPKvPviii.kd
    .uniform_work_group_size: 1
    .uses_dynamic_stack: false
    .vgpr_count:     28
    .vgpr_spill_count: 0
    .wavefront_size: 64
  - .agpr_count:     0
    .args:
      - .actual_access:  read_only
        .address_space:  global
        .offset:         0
        .size:           8
        .value_kind:     global_buffer
      - .actual_access:  write_only
        .address_space:  global
        .offset:         8
        .size:           8
        .value_kind:     global_buffer
      - .offset:         16
        .size:           4
        .value_kind:     by_value
      - .offset:         20
        .size:           4
        .value_kind:     by_value
      - .offset:         24
        .size:           4
        .value_kind:     by_value
      - .offset:         32
        .size:           4
        .value_kind:     hidden_block_count_x
      - .offset:         36
        .size:           4
        .value_kind:     hidden_block_count_y
      - .offset:         40
        .size:           4
        .value_kind:     hidden_block_count_z
      - .offset:         44
        .size:           2
        .value_kind:     hidden_group_size_x
      - .offset:         46
        .size:           2
        .value_kind:     hidden_group_size_y
      - .offset:         48
        .size:           2
        .value_kind:     hidden_group_size_z
      - .offset:         50
        .size:           2
        .value_kind:     hidden_remainder_x
      - .offset:         52
        .size:           2
        .value_kind:     hidden_remainder_y
      - .offset:         54
        .size:           2
        .value_kind:     hidden_remainder_z
      - .offset:         72
        .size:           8
        .value_kind:     hidden_global_offset_x
      - .offset:         80
        .size:           8
        .value_kind:     hidden_global_offset_y
      - .offset:         88
        .size:           8
        .value_kind:     hidden_global_offset_z
      - .offset:         96
        .size:           2
        .value_kind:     hidden_grid_dims
    .group_segment_fixed_size: 0
    .kernarg_segment_align: 8
    .kernarg_segment_size: 288
    .language:       OpenCL C
    .language_version:
      - 2
      - 0
    .max_flat_workgroup_size: 1024
    .name:           _ZN5aiter26unary_operator_tile_kernelIfLi8ELi8ENS_6TanhOpEEEvPKvPviii
    .private_segment_fixed_size: 0
    .sgpr_count:     20
    .sgpr_spill_count: 0
    .symbol:         _ZN5aiter26unary_operator_tile_kernelIfLi8ELi8ENS_6TanhOpEEEvPKvPviii.kd
    .uniform_work_group_size: 1
    .uses_dynamic_stack: false
    .vgpr_count:     15
    .vgpr_spill_count: 0
    .wavefront_size: 64
  - .agpr_count:     0
    .args:
      - .actual_access:  read_only
        .address_space:  global
        .offset:         0
        .size:           8
        .value_kind:     global_buffer
      - .actual_access:  write_only
        .address_space:  global
        .offset:         8
        .size:           8
        .value_kind:     global_buffer
      - .offset:         16
        .size:           4
        .value_kind:     by_value
      - .offset:         20
        .size:           4
        .value_kind:     by_value
      - .offset:         24
        .size:           4
        .value_kind:     by_value
      - .offset:         32
        .size:           4
        .value_kind:     hidden_block_count_x
      - .offset:         36
        .size:           4
        .value_kind:     hidden_block_count_y
      - .offset:         40
        .size:           4
        .value_kind:     hidden_block_count_z
      - .offset:         44
        .size:           2
        .value_kind:     hidden_group_size_x
      - .offset:         46
        .size:           2
        .value_kind:     hidden_group_size_y
      - .offset:         48
        .size:           2
        .value_kind:     hidden_group_size_z
      - .offset:         50
        .size:           2
        .value_kind:     hidden_remainder_x
      - .offset:         52
        .size:           2
        .value_kind:     hidden_remainder_y
      - .offset:         54
        .size:           2
        .value_kind:     hidden_remainder_z
      - .offset:         72
        .size:           8
        .value_kind:     hidden_global_offset_x
      - .offset:         80
        .size:           8
        .value_kind:     hidden_global_offset_y
      - .offset:         88
        .size:           8
        .value_kind:     hidden_global_offset_z
      - .offset:         96
        .size:           2
        .value_kind:     hidden_grid_dims
    .group_segment_fixed_size: 0
    .kernarg_segment_align: 8
    .kernarg_segment_size: 288
    .language:       OpenCL C
    .language_version:
      - 2
      - 0
    .max_flat_workgroup_size: 1024
    .name:           _ZN5aiter26unary_operator_tile_kernelIN3c104HalfELi8ELi8ENS_6TanhOpEEEvPKvPviii
    .private_segment_fixed_size: 0
    .sgpr_count:     20
    .sgpr_spill_count: 0
    .symbol:         _ZN5aiter26unary_operator_tile_kernelIN3c104HalfELi8ELi8ENS_6TanhOpEEEvPKvPviii.kd
    .uniform_work_group_size: 1
    .uses_dynamic_stack: false
    .vgpr_count:     20
    .vgpr_spill_count: 0
    .wavefront_size: 64
  - .agpr_count:     0
    .args:
      - .actual_access:  read_only
        .address_space:  global
        .offset:         0
        .size:           8
        .value_kind:     global_buffer
      - .actual_access:  write_only
        .address_space:  global
        .offset:         8
        .size:           8
        .value_kind:     global_buffer
      - .offset:         16
        .size:           4
        .value_kind:     by_value
      - .offset:         20
        .size:           4
        .value_kind:     by_value
      - .offset:         24
        .size:           4
        .value_kind:     by_value
      - .offset:         32
        .size:           4
        .value_kind:     hidden_block_count_x
      - .offset:         36
        .size:           4
        .value_kind:     hidden_block_count_y
      - .offset:         40
        .size:           4
        .value_kind:     hidden_block_count_z
      - .offset:         44
        .size:           2
        .value_kind:     hidden_group_size_x
      - .offset:         46
        .size:           2
        .value_kind:     hidden_group_size_y
      - .offset:         48
        .size:           2
        .value_kind:     hidden_group_size_z
      - .offset:         50
        .size:           2
        .value_kind:     hidden_remainder_x
      - .offset:         52
        .size:           2
        .value_kind:     hidden_remainder_y
      - .offset:         54
        .size:           2
        .value_kind:     hidden_remainder_z
      - .offset:         72
        .size:           8
        .value_kind:     hidden_global_offset_x
      - .offset:         80
        .size:           8
        .value_kind:     hidden_global_offset_y
      - .offset:         88
        .size:           8
        .value_kind:     hidden_global_offset_z
      - .offset:         96
        .size:           2
        .value_kind:     hidden_grid_dims
    .group_segment_fixed_size: 0
    .kernarg_segment_align: 8
    .kernarg_segment_size: 288
    .language:       OpenCL C
    .language_version:
      - 2
      - 0
    .max_flat_workgroup_size: 1024
    .name:           _ZN5aiter26unary_operator_tile_kernelIN3c108BFloat16ELi8ELi8ENS_6TanhOpEEEvPKvPviii
    .private_segment_fixed_size: 0
    .sgpr_count:     20
    .sgpr_spill_count: 0
    .symbol:         _ZN5aiter26unary_operator_tile_kernelIN3c108BFloat16ELi8ELi8ENS_6TanhOpEEEvPKvPviii.kd
    .uniform_work_group_size: 1
    .uses_dynamic_stack: false
    .vgpr_count:     21
    .vgpr_spill_count: 0
    .wavefront_size: 64
amdhsa.target:   amdgcn-amd-amdhsa--gfx90a
amdhsa.version:
  - 1
  - 2
...

	.end_amdgpu_metadata
